;; amdgpu-corpus repo=ROCm/rocFFT kind=compiled arch=gfx906 opt=O3
	.text
	.amdgcn_target "amdgcn-amd-amdhsa--gfx906"
	.amdhsa_code_object_version 6
	.protected	fft_rtc_back_len1521_factors_13_3_3_13_wgs_117_tpt_117_halfLds_dp_op_CI_CI_sbrr_dirReg ; -- Begin function fft_rtc_back_len1521_factors_13_3_3_13_wgs_117_tpt_117_halfLds_dp_op_CI_CI_sbrr_dirReg
	.globl	fft_rtc_back_len1521_factors_13_3_3_13_wgs_117_tpt_117_halfLds_dp_op_CI_CI_sbrr_dirReg
	.p2align	8
	.type	fft_rtc_back_len1521_factors_13_3_3_13_wgs_117_tpt_117_halfLds_dp_op_CI_CI_sbrr_dirReg,@function
fft_rtc_back_len1521_factors_13_3_3_13_wgs_117_tpt_117_halfLds_dp_op_CI_CI_sbrr_dirReg: ; @fft_rtc_back_len1521_factors_13_3_3_13_wgs_117_tpt_117_halfLds_dp_op_CI_CI_sbrr_dirReg
; %bb.0:
	s_load_dwordx4 s[16:19], s[4:5], 0x18
	s_load_dwordx4 s[12:15], s[4:5], 0x0
	;; [unrolled: 1-line block ×3, first 2 shown]
	v_mul_u32_u24_e32 v1, 0x231, v0
	v_add_u32_sdwa v6, s6, v1 dst_sel:DWORD dst_unused:UNUSED_PAD src0_sel:DWORD src1_sel:WORD_1
	s_waitcnt lgkmcnt(0)
	s_load_dwordx2 s[20:21], s[16:17], 0x0
	s_load_dwordx2 s[2:3], s[18:19], 0x0
	v_cmp_lt_u64_e64 s[0:1], s[14:15], 2
	v_mov_b32_e32 v1, 0
	v_mov_b32_e32 v4, 0
	;; [unrolled: 1-line block ×3, first 2 shown]
	s_and_b64 vcc, exec, s[0:1]
	v_mov_b32_e32 v5, 0
	s_cbranch_vccnz .LBB0_8
; %bb.1:
	s_load_dwordx2 s[0:1], s[4:5], 0x10
	s_add_u32 s6, s18, 8
	s_addc_u32 s7, s19, 0
	s_add_u32 s22, s16, 8
	v_mov_b32_e32 v4, 0
	s_addc_u32 s23, s17, 0
	v_mov_b32_e32 v5, 0
	s_waitcnt lgkmcnt(0)
	s_add_u32 s24, s0, 8
	v_mov_b32_e32 v69, v5
	s_addc_u32 s25, s1, 0
	s_mov_b64 s[26:27], 1
	v_mov_b32_e32 v68, v4
.LBB0_2:                                ; =>This Inner Loop Header: Depth=1
	s_load_dwordx2 s[28:29], s[24:25], 0x0
                                        ; implicit-def: $vgpr70_vgpr71
	s_waitcnt lgkmcnt(0)
	v_or_b32_e32 v2, s29, v7
	v_cmp_ne_u64_e32 vcc, 0, v[1:2]
	s_and_saveexec_b64 s[0:1], vcc
	s_xor_b64 s[30:31], exec, s[0:1]
	s_cbranch_execz .LBB0_4
; %bb.3:                                ;   in Loop: Header=BB0_2 Depth=1
	v_cvt_f32_u32_e32 v2, s28
	v_cvt_f32_u32_e32 v3, s29
	s_sub_u32 s0, 0, s28
	s_subb_u32 s1, 0, s29
	v_mac_f32_e32 v2, 0x4f800000, v3
	v_rcp_f32_e32 v2, v2
	v_mul_f32_e32 v2, 0x5f7ffffc, v2
	v_mul_f32_e32 v3, 0x2f800000, v2
	v_trunc_f32_e32 v3, v3
	v_mac_f32_e32 v2, 0xcf800000, v3
	v_cvt_u32_f32_e32 v3, v3
	v_cvt_u32_f32_e32 v2, v2
	v_mul_lo_u32 v8, s0, v3
	v_mul_hi_u32 v9, s0, v2
	v_mul_lo_u32 v11, s1, v2
	v_mul_lo_u32 v10, s0, v2
	v_add_u32_e32 v8, v9, v8
	v_add_u32_e32 v8, v8, v11
	v_mul_hi_u32 v9, v2, v10
	v_mul_lo_u32 v11, v2, v8
	v_mul_hi_u32 v13, v2, v8
	v_mul_hi_u32 v12, v3, v10
	v_mul_lo_u32 v10, v3, v10
	v_mul_hi_u32 v14, v3, v8
	v_add_co_u32_e32 v9, vcc, v9, v11
	v_addc_co_u32_e32 v11, vcc, 0, v13, vcc
	v_mul_lo_u32 v8, v3, v8
	v_add_co_u32_e32 v9, vcc, v9, v10
	v_addc_co_u32_e32 v9, vcc, v11, v12, vcc
	v_addc_co_u32_e32 v10, vcc, 0, v14, vcc
	v_add_co_u32_e32 v8, vcc, v9, v8
	v_addc_co_u32_e32 v9, vcc, 0, v10, vcc
	v_add_co_u32_e32 v2, vcc, v2, v8
	v_addc_co_u32_e32 v3, vcc, v3, v9, vcc
	v_mul_lo_u32 v8, s0, v3
	v_mul_hi_u32 v9, s0, v2
	v_mul_lo_u32 v10, s1, v2
	v_mul_lo_u32 v11, s0, v2
	v_add_u32_e32 v8, v9, v8
	v_add_u32_e32 v8, v8, v10
	v_mul_lo_u32 v12, v2, v8
	v_mul_hi_u32 v13, v2, v11
	v_mul_hi_u32 v14, v2, v8
	;; [unrolled: 1-line block ×3, first 2 shown]
	v_mul_lo_u32 v11, v3, v11
	v_mul_hi_u32 v9, v3, v8
	v_add_co_u32_e32 v12, vcc, v13, v12
	v_addc_co_u32_e32 v13, vcc, 0, v14, vcc
	v_mul_lo_u32 v8, v3, v8
	v_add_co_u32_e32 v11, vcc, v12, v11
	v_addc_co_u32_e32 v10, vcc, v13, v10, vcc
	v_addc_co_u32_e32 v9, vcc, 0, v9, vcc
	v_add_co_u32_e32 v8, vcc, v10, v8
	v_addc_co_u32_e32 v9, vcc, 0, v9, vcc
	v_add_co_u32_e32 v8, vcc, v2, v8
	v_addc_co_u32_e32 v9, vcc, v3, v9, vcc
	v_mad_u64_u32 v[2:3], s[0:1], v6, v9, 0
	v_mul_hi_u32 v10, v6, v8
	v_add_co_u32_e32 v10, vcc, v10, v2
	v_addc_co_u32_e32 v11, vcc, 0, v3, vcc
	v_mad_u64_u32 v[2:3], s[0:1], v7, v8, 0
	v_mad_u64_u32 v[8:9], s[0:1], v7, v9, 0
	v_add_co_u32_e32 v2, vcc, v10, v2
	v_addc_co_u32_e32 v2, vcc, v11, v3, vcc
	v_addc_co_u32_e32 v3, vcc, 0, v9, vcc
	v_add_co_u32_e32 v8, vcc, v2, v8
	v_addc_co_u32_e32 v9, vcc, 0, v3, vcc
	v_mul_lo_u32 v10, s29, v8
	v_mul_lo_u32 v11, s28, v9
	v_mad_u64_u32 v[2:3], s[0:1], s28, v8, 0
	v_add3_u32 v3, v3, v11, v10
	v_sub_u32_e32 v10, v7, v3
	v_mov_b32_e32 v11, s29
	v_sub_co_u32_e32 v2, vcc, v6, v2
	v_subb_co_u32_e64 v10, s[0:1], v10, v11, vcc
	v_subrev_co_u32_e64 v11, s[0:1], s28, v2
	v_subbrev_co_u32_e64 v10, s[0:1], 0, v10, s[0:1]
	v_cmp_le_u32_e64 s[0:1], s29, v10
	v_cndmask_b32_e64 v12, 0, -1, s[0:1]
	v_cmp_le_u32_e64 s[0:1], s28, v11
	v_cndmask_b32_e64 v11, 0, -1, s[0:1]
	v_cmp_eq_u32_e64 s[0:1], s29, v10
	v_cndmask_b32_e64 v10, v12, v11, s[0:1]
	v_add_co_u32_e64 v11, s[0:1], 2, v8
	v_addc_co_u32_e64 v12, s[0:1], 0, v9, s[0:1]
	v_add_co_u32_e64 v13, s[0:1], 1, v8
	v_addc_co_u32_e64 v14, s[0:1], 0, v9, s[0:1]
	v_subb_co_u32_e32 v3, vcc, v7, v3, vcc
	v_cmp_ne_u32_e64 s[0:1], 0, v10
	v_cmp_le_u32_e32 vcc, s29, v3
	v_cndmask_b32_e64 v10, v14, v12, s[0:1]
	v_cndmask_b32_e64 v12, 0, -1, vcc
	v_cmp_le_u32_e32 vcc, s28, v2
	v_cndmask_b32_e64 v2, 0, -1, vcc
	v_cmp_eq_u32_e32 vcc, s29, v3
	v_cndmask_b32_e32 v2, v12, v2, vcc
	v_cmp_ne_u32_e32 vcc, 0, v2
	v_cndmask_b32_e64 v2, v13, v11, s[0:1]
	v_cndmask_b32_e32 v71, v9, v10, vcc
	v_cndmask_b32_e32 v70, v8, v2, vcc
.LBB0_4:                                ;   in Loop: Header=BB0_2 Depth=1
	s_andn2_saveexec_b64 s[0:1], s[30:31]
	s_cbranch_execz .LBB0_6
; %bb.5:                                ;   in Loop: Header=BB0_2 Depth=1
	v_cvt_f32_u32_e32 v2, s28
	s_sub_i32 s30, 0, s28
	v_mov_b32_e32 v71, v1
	v_rcp_iflag_f32_e32 v2, v2
	v_mul_f32_e32 v2, 0x4f7ffffe, v2
	v_cvt_u32_f32_e32 v2, v2
	v_mul_lo_u32 v3, s30, v2
	v_mul_hi_u32 v3, v2, v3
	v_add_u32_e32 v2, v2, v3
	v_mul_hi_u32 v2, v6, v2
	v_mul_lo_u32 v3, v2, s28
	v_add_u32_e32 v8, 1, v2
	v_sub_u32_e32 v3, v6, v3
	v_subrev_u32_e32 v9, s28, v3
	v_cmp_le_u32_e32 vcc, s28, v3
	v_cndmask_b32_e32 v3, v3, v9, vcc
	v_cndmask_b32_e32 v2, v2, v8, vcc
	v_add_u32_e32 v8, 1, v2
	v_cmp_le_u32_e32 vcc, s28, v3
	v_cndmask_b32_e32 v70, v2, v8, vcc
.LBB0_6:                                ;   in Loop: Header=BB0_2 Depth=1
	s_or_b64 exec, exec, s[0:1]
	v_mul_lo_u32 v8, v71, s28
	v_mul_lo_u32 v9, v70, s29
	v_mad_u64_u32 v[2:3], s[0:1], v70, s28, 0
	s_load_dwordx2 s[0:1], s[22:23], 0x0
	s_load_dwordx2 s[28:29], s[6:7], 0x0
	v_add3_u32 v3, v3, v9, v8
	v_sub_co_u32_e32 v2, vcc, v6, v2
	v_subb_co_u32_e32 v3, vcc, v7, v3, vcc
	s_waitcnt lgkmcnt(0)
	v_mul_lo_u32 v6, s0, v3
	v_mul_lo_u32 v7, s1, v2
	v_mad_u64_u32 v[4:5], s[0:1], s0, v2, v[4:5]
	v_mul_lo_u32 v3, s28, v3
	v_mul_lo_u32 v8, s29, v2
	v_mad_u64_u32 v[68:69], s[0:1], s28, v2, v[68:69]
	s_add_u32 s26, s26, 1
	s_addc_u32 s27, s27, 0
	s_add_u32 s6, s6, 8
	v_add3_u32 v69, v8, v69, v3
	s_addc_u32 s7, s7, 0
	v_mov_b32_e32 v2, s14
	s_add_u32 s22, s22, 8
	v_mov_b32_e32 v3, s15
	s_addc_u32 s23, s23, 0
	v_cmp_ge_u64_e32 vcc, s[26:27], v[2:3]
	s_add_u32 s24, s24, 8
	v_add3_u32 v5, v7, v5, v6
	s_addc_u32 s25, s25, 0
	s_cbranch_vccnz .LBB0_9
; %bb.7:                                ;   in Loop: Header=BB0_2 Depth=1
	v_mov_b32_e32 v6, v70
	v_mov_b32_e32 v7, v71
	s_branch .LBB0_2
.LBB0_8:
	v_mov_b32_e32 v69, v5
	v_mov_b32_e32 v71, v7
	;; [unrolled: 1-line block ×4, first 2 shown]
.LBB0_9:
	s_load_dwordx2 s[0:1], s[4:5], 0x28
	s_lshl_b64 s[14:15], s[14:15], 3
	s_add_u32 s4, s18, s14
	s_addc_u32 s5, s19, s15
                                        ; implicit-def: $sgpr18
                                        ; implicit-def: $vgpr100
                                        ; implicit-def: $vgpr101
                                        ; implicit-def: $vgpr104
                                        ; implicit-def: $vgpr103
                                        ; implicit-def: $vgpr102
	s_waitcnt lgkmcnt(0)
	v_cmp_gt_u64_e32 vcc, s[0:1], v[70:71]
	v_cmp_le_u64_e64 s[0:1], s[0:1], v[70:71]
	s_and_saveexec_b64 s[6:7], s[0:1]
	s_xor_b64 s[0:1], exec, s[6:7]
; %bb.10:
	s_mov_b32 s6, 0x2302303
	v_mul_hi_u32 v1, v0, s6
	s_mov_b32 s18, 0
                                        ; implicit-def: $vgpr4_vgpr5
	v_mul_u32_u24_e32 v1, 0x75, v1
	v_sub_u32_e32 v100, v0, v1
	v_add_u32_e32 v101, 0x75, v100
	v_add_u32_e32 v104, 0xea, v100
	;; [unrolled: 1-line block ×4, first 2 shown]
                                        ; implicit-def: $vgpr0
; %bb.11:
	s_or_saveexec_b64 s[6:7], s[0:1]
	v_mov_b32_e32 v132, s18
                                        ; implicit-def: $vgpr50_vgpr51
                                        ; implicit-def: $vgpr38_vgpr39
                                        ; implicit-def: $vgpr30_vgpr31
                                        ; implicit-def: $vgpr22_vgpr23
                                        ; implicit-def: $vgpr14_vgpr15
                                        ; implicit-def: $vgpr6_vgpr7
                                        ; implicit-def: $vgpr2_vgpr3
                                        ; implicit-def: $vgpr10_vgpr11
                                        ; implicit-def: $vgpr18_vgpr19
                                        ; implicit-def: $vgpr26_vgpr27
                                        ; implicit-def: $vgpr34_vgpr35
                                        ; implicit-def: $vgpr46_vgpr47
                                        ; implicit-def: $vgpr42_vgpr43
	s_xor_b64 exec, exec, s[6:7]
	s_cbranch_execz .LBB0_13
; %bb.12:
	s_add_u32 s0, s16, s14
	s_mov_b32 s14, 0x2302303
	s_addc_u32 s1, s17, s15
	v_mul_hi_u32 v1, v0, s14
	s_load_dwordx2 s[0:1], s[0:1], 0x0
	v_mul_u32_u24_e32 v1, 0x75, v1
	v_sub_u32_e32 v100, v0, v1
	s_waitcnt lgkmcnt(0)
	v_mul_lo_u32 v8, s1, v70
	v_mad_u64_u32 v[0:1], s[14:15], s20, v100, 0
	v_mul_lo_u32 v9, s0, v71
	v_mad_u64_u32 v[2:3], s[0:1], s0, v70, 0
	v_add_u32_e32 v101, 0x75, v100
	v_add_u32_e32 v104, 0xea, v100
	v_mad_u64_u32 v[6:7], s[0:1], s21, v100, v[1:2]
	v_add3_u32 v3, v3, v9, v8
	v_lshlrev_b64 v[2:3], 4, v[2:3]
	v_mov_b32_e32 v1, v6
	v_mov_b32_e32 v6, s9
	v_add_co_u32_e64 v7, s[0:1], s8, v2
	v_addc_co_u32_e64 v6, s[0:1], v6, v3, s[0:1]
	v_lshlrev_b64 v[2:3], 4, v[4:5]
	v_mad_u64_u32 v[4:5], s[0:1], s20, v101, 0
	v_add_co_u32_e64 v8, s[0:1], v7, v2
	v_mov_b32_e32 v2, v5
	v_addc_co_u32_e64 v9, s[0:1], v6, v3, s[0:1]
	v_mad_u64_u32 v[2:3], s[0:1], s21, v101, v[2:3]
	v_mad_u64_u32 v[6:7], s[0:1], s20, v104, 0
	v_lshlrev_b64 v[0:1], 4, v[0:1]
	v_mov_b32_e32 v5, v2
	v_add_co_u32_e64 v52, s[0:1], v8, v0
	v_mov_b32_e32 v2, v7
	v_addc_co_u32_e64 v53, s[0:1], v9, v1, s[0:1]
	v_mad_u64_u32 v[2:3], s[0:1], s21, v104, v[2:3]
	v_add_u32_e32 v103, 0x15f, v100
	v_lshlrev_b64 v[0:1], 4, v[4:5]
	v_mad_u64_u32 v[3:4], s[0:1], s20, v103, 0
	v_add_co_u32_e64 v54, s[0:1], v8, v0
	v_mov_b32_e32 v7, v2
	v_mov_b32_e32 v2, v4
	v_addc_co_u32_e64 v55, s[0:1], v9, v1, s[0:1]
	v_mad_u64_u32 v[4:5], s[0:1], s21, v103, v[2:3]
	v_add_u32_e32 v102, 0x1d4, v100
	v_lshlrev_b64 v[0:1], 4, v[6:7]
	v_mad_u64_u32 v[5:6], s[0:1], s20, v102, 0
	v_add_co_u32_e64 v56, s[0:1], v8, v0
	v_mov_b32_e32 v2, v6
	v_addc_co_u32_e64 v57, s[0:1], v9, v1, s[0:1]
	v_lshlrev_b64 v[0:1], 4, v[3:4]
	v_mad_u64_u32 v[2:3], s[0:1], s21, v102, v[2:3]
	v_add_u32_e32 v7, 0x249, v100
	v_mad_u64_u32 v[3:4], s[0:1], s20, v7, 0
	v_add_co_u32_e64 v58, s[0:1], v8, v0
	v_mov_b32_e32 v6, v2
	v_mov_b32_e32 v2, v4
	v_addc_co_u32_e64 v59, s[0:1], v9, v1, s[0:1]
	v_lshlrev_b64 v[0:1], 4, v[5:6]
	v_mad_u64_u32 v[4:5], s[0:1], s21, v7, v[2:3]
	v_add_u32_e32 v7, 0x2be, v100
	v_mad_u64_u32 v[5:6], s[0:1], s20, v7, 0
	v_add_co_u32_e64 v60, s[0:1], v8, v0
	v_mov_b32_e32 v2, v6
	v_addc_co_u32_e64 v61, s[0:1], v9, v1, s[0:1]
	v_lshlrev_b64 v[0:1], 4, v[3:4]
	v_mad_u64_u32 v[2:3], s[0:1], s21, v7, v[2:3]
	v_add_u32_e32 v7, 0x333, v100
	v_mad_u64_u32 v[3:4], s[0:1], s20, v7, 0
	v_add_co_u32_e64 v62, s[0:1], v8, v0
	v_mov_b32_e32 v6, v2
	v_mov_b32_e32 v2, v4
	v_addc_co_u32_e64 v63, s[0:1], v9, v1, s[0:1]
	v_lshlrev_b64 v[0:1], 4, v[5:6]
	v_mad_u64_u32 v[4:5], s[0:1], s21, v7, v[2:3]
	v_add_u32_e32 v7, 0x3a8, v100
	;; [unrolled: 15-line block ×4, first 2 shown]
	v_mad_u64_u32 v[5:6], s[0:1], s20, v7, 0
	v_add_co_u32_e64 v76, s[0:1], v8, v0
	v_mov_b32_e32 v2, v6
	v_addc_co_u32_e64 v77, s[0:1], v9, v1, s[0:1]
	v_lshlrev_b64 v[0:1], 4, v[3:4]
	v_mad_u64_u32 v[2:3], s[0:1], s21, v7, v[2:3]
	v_add_co_u32_e64 v78, s[0:1], v8, v0
	v_mov_b32_e32 v6, v2
	v_addc_co_u32_e64 v79, s[0:1], v9, v1, s[0:1]
	v_lshlrev_b64 v[0:1], 4, v[5:6]
	v_mov_b32_e32 v132, v100
	v_add_co_u32_e64 v80, s[0:1], v8, v0
	v_addc_co_u32_e64 v81, s[0:1], v9, v1, s[0:1]
	global_load_dwordx4 v[40:43], v[52:53], off
	global_load_dwordx4 v[44:47], v[54:55], off
	;; [unrolled: 1-line block ×13, first 2 shown]
.LBB0_13:
	s_or_b64 exec, exec, s[6:7]
	s_waitcnt vmcnt(0)
	v_add_f64 v[56:57], v[46:47], -v[50:51]
	s_mov_b32 s42, 0x4267c47c
	s_mov_b32 s28, 0x42a4c3d2
	;; [unrolled: 1-line block ×4, first 2 shown]
	v_add_f64 v[54:55], v[48:49], v[44:45]
	v_add_f64 v[60:61], v[34:35], -v[38:39]
	s_mov_b32 s16, 0xe00740e9
	v_mul_f64 v[62:63], v[56:57], s[42:43]
	v_mul_f64 v[64:65], v[56:57], s[28:29]
	s_mov_b32 s8, 0x1ea71119
	s_mov_b32 s34, 0x66966769
	;; [unrolled: 1-line block ×11, first 2 shown]
	v_add_f64 v[58:59], v[36:37], v[32:33]
	v_mul_f64 v[66:67], v[56:57], s[34:35]
	v_mul_f64 v[72:73], v[56:57], s[18:19]
	;; [unrolled: 1-line block ×6, first 2 shown]
	v_fma_f64 v[86:87], v[54:55], s[16:17], v[62:63]
	v_fma_f64 v[62:63], v[54:55], s[16:17], -v[62:63]
	v_fma_f64 v[88:89], v[54:55], s[8:9], v[64:65]
	v_fma_f64 v[64:65], v[54:55], s[8:9], -v[64:65]
	s_mov_b32 s6, 0xebaa3ed8
	s_mov_b32 s14, 0xb2365da1
	;; [unrolled: 1-line block ×12, first 2 shown]
	v_mul_f64 v[80:81], v[60:61], s[26:27]
	v_mul_f64 v[82:83], v[60:61], s[38:39]
	;; [unrolled: 1-line block ×3, first 2 shown]
	v_fma_f64 v[90:91], v[54:55], s[6:7], v[66:67]
	v_fma_f64 v[66:67], v[54:55], s[6:7], -v[66:67]
	v_fma_f64 v[92:93], v[54:55], s[14:15], v[72:73]
	v_fma_f64 v[72:73], v[54:55], s[14:15], -v[72:73]
	;; [unrolled: 2-line block ×6, first 2 shown]
	v_add_f64 v[86:87], v[40:41], v[86:87]
	v_add_f64 v[62:63], v[40:41], v[62:63]
	;; [unrolled: 1-line block ×4, first 2 shown]
	s_mov_b32 s37, 0x3fddbe06
	s_mov_b32 s36, s42
	v_add_f64 v[52:53], v[44:45], v[40:41]
	v_fma_f64 v[105:106], v[58:59], s[24:25], v[80:81]
	v_add_f64 v[90:91], v[40:41], v[90:91]
	v_add_f64 v[66:67], v[40:41], v[66:67]
	;; [unrolled: 1-line block ×12, first 2 shown]
	v_fma_f64 v[78:79], v[58:59], s[24:25], -v[80:81]
	v_fma_f64 v[80:81], v[58:59], s[22:23], v[82:83]
	v_fma_f64 v[82:83], v[58:59], s[22:23], -v[82:83]
	v_fma_f64 v[86:87], v[58:59], s[6:7], v[84:85]
	v_fma_f64 v[84:85], v[58:59], s[6:7], -v[84:85]
	v_add_f64 v[88:89], v[26:27], -v[30:31]
	v_mul_f64 v[60:61], v[60:61], s[36:37]
	s_mov_b32 s47, 0x3fedeba7
	s_mov_b32 s46, s18
	v_add_f64 v[76:77], v[105:106], v[90:91]
	v_add_f64 v[66:67], v[78:79], v[66:67]
	;; [unrolled: 1-line block ×6, first 2 shown]
	v_mul_f64 v[86:87], v[88:89], s[34:35]
	v_add_f64 v[74:75], v[84:85], v[74:75]
	v_fma_f64 v[84:85], v[58:59], s[16:17], v[60:61]
	v_fma_f64 v[58:59], v[58:59], s[16:17], -v[60:61]
	v_mul_f64 v[60:61], v[88:89], s[26:27]
	v_mul_f64 v[90:91], v[88:89], s[46:47]
	v_add_f64 v[52:53], v[32:33], v[52:53]
	s_mov_b32 s45, 0x3fcea1e5
	v_fma_f64 v[92:93], v[82:83], s[6:7], v[86:87]
	v_fma_f64 v[86:87], v[82:83], s[6:7], -v[86:87]
	v_add_f64 v[84:85], v[84:85], v[96:97]
	v_add_f64 v[40:41], v[58:59], v[40:41]
	v_mul_f64 v[58:59], v[88:89], s[36:37]
	v_fma_f64 v[94:95], v[82:83], s[24:25], v[60:61]
	v_fma_f64 v[60:61], v[82:83], s[24:25], -v[60:61]
	v_fma_f64 v[96:97], v[82:83], s[14:15], v[90:91]
	v_add_f64 v[54:55], v[92:93], v[54:55]
	v_add_f64 v[56:57], v[86:87], v[56:57]
	v_fma_f64 v[86:87], v[82:83], s[14:15], -v[90:91]
	v_mul_f64 v[90:91], v[88:89], s[28:29]
	v_fma_f64 v[92:93], v[82:83], s[16:17], v[58:59]
	v_fma_f64 v[58:59], v[82:83], s[16:17], -v[58:59]
	v_add_f64 v[60:61], v[60:61], v[64:65]
	v_add_f64 v[64:65], v[96:97], v[76:77]
	v_add_f64 v[76:77], v[18:19], -v[22:23]
	v_mul_f64 v[88:89], v[88:89], s[20:21]
	v_add_f64 v[62:63], v[94:95], v[62:63]
	v_add_f64 v[66:67], v[86:87], v[66:67]
	v_fma_f64 v[86:87], v[82:83], s[8:9], v[90:91]
	v_add_f64 v[78:79], v[92:93], v[78:79]
	v_fma_f64 v[90:91], v[82:83], s[8:9], -v[90:91]
	v_add_f64 v[92:93], v[20:21], v[16:17]
	v_mul_f64 v[94:95], v[76:77], s[18:19]
	v_add_f64 v[58:59], v[58:59], v[72:73]
	v_mul_f64 v[72:73], v[76:77], s[38:39]
	v_fma_f64 v[96:97], v[82:83], s[22:23], v[88:89]
	v_add_f64 v[52:53], v[24:25], v[52:53]
	v_add_f64 v[80:81], v[86:87], v[80:81]
	v_mul_f64 v[86:87], v[76:77], s[36:37]
	v_add_f64 v[74:75], v[90:91], v[74:75]
	v_fma_f64 v[82:83], v[82:83], s[22:23], -v[88:89]
	v_fma_f64 v[88:89], v[92:93], s[14:15], v[94:95]
	v_fma_f64 v[90:91], v[92:93], s[14:15], -v[94:95]
	v_fma_f64 v[94:95], v[92:93], s[22:23], v[72:73]
	v_fma_f64 v[72:73], v[92:93], s[22:23], -v[72:73]
	v_add_f64 v[84:85], v[96:97], v[84:85]
	v_mul_f64 v[96:97], v[76:77], s[34:35]
	v_add_f64 v[52:53], v[16:17], v[52:53]
	s_mov_b32 s44, s26
	v_fma_f64 v[98:99], v[92:93], s[16:17], v[86:87]
	v_add_f64 v[40:41], v[82:83], v[40:41]
	v_add_f64 v[56:57], v[90:91], v[56:57]
	;; [unrolled: 1-line block ×3, first 2 shown]
	v_fma_f64 v[72:73], v[92:93], s[16:17], -v[86:87]
	v_fma_f64 v[82:83], v[92:93], s[6:7], v[96:97]
	v_mul_f64 v[86:87], v[76:77], s[44:45]
	v_add_f64 v[90:91], v[10:11], -v[14:15]
	s_mov_b32 s41, 0x3fea55e2
	s_mov_b32 s40, s28
	v_add_f64 v[54:55], v[88:89], v[54:55]
	v_fma_f64 v[88:89], v[92:93], s[6:7], -v[96:97]
	v_mul_f64 v[76:77], v[76:77], s[40:41]
	v_add_f64 v[52:53], v[8:9], v[52:53]
	v_add_f64 v[62:63], v[94:95], v[62:63]
	;; [unrolled: 1-line block ×4, first 2 shown]
	v_fma_f64 v[78:79], v[92:93], s[24:25], v[86:87]
	v_add_f64 v[82:83], v[12:13], v[8:9]
	v_mul_f64 v[94:95], v[90:91], s[20:21]
	v_add_f64 v[58:59], v[88:89], v[58:59]
	v_fma_f64 v[86:87], v[92:93], s[24:25], -v[86:87]
	v_fma_f64 v[88:89], v[92:93], s[8:9], v[76:77]
	v_mul_f64 v[96:97], v[90:91], s[30:31]
	v_fma_f64 v[76:77], v[92:93], s[8:9], -v[76:77]
	v_add_f64 v[52:53], v[0:1], v[52:53]
	v_add_f64 v[78:79], v[78:79], v[80:81]
	v_mul_f64 v[80:81], v[90:91], s[28:29]
	v_fma_f64 v[92:93], v[82:83], s[22:23], v[94:95]
	v_add_f64 v[74:75], v[86:87], v[74:75]
	v_add_f64 v[64:65], v[98:99], v[64:65]
	v_fma_f64 v[86:87], v[82:83], s[6:7], v[96:97]
	v_add_f64 v[40:41], v[76:77], v[40:41]
	v_fma_f64 v[76:77], v[82:83], s[6:7], -v[96:97]
	v_add_f64 v[52:53], v[4:5], v[52:53]
	v_add_f64 v[84:85], v[88:89], v[84:85]
	v_fma_f64 v[88:89], v[82:83], s[8:9], v[80:81]
	v_add_f64 v[54:55], v[92:93], v[54:55]
	v_fma_f64 v[80:81], v[82:83], s[8:9], -v[80:81]
	v_mul_f64 v[92:93], v[90:91], s[44:45]
	v_fma_f64 v[94:95], v[82:83], s[22:23], -v[94:95]
	v_add_f64 v[62:63], v[86:87], v[62:63]
	v_mul_f64 v[86:87], v[90:91], s[36:37]
	v_add_f64 v[60:61], v[76:77], v[60:61]
	v_add_f64 v[76:77], v[2:3], -v[6:7]
	v_add_f64 v[52:53], v[12:13], v[52:53]
	v_add_f64 v[64:65], v[88:89], v[64:65]
	v_mul_f64 v[88:89], v[90:91], s[18:19]
	v_add_f64 v[66:67], v[80:81], v[66:67]
	v_fma_f64 v[80:81], v[82:83], s[24:25], v[92:93]
	v_add_f64 v[56:57], v[94:95], v[56:57]
	v_fma_f64 v[90:91], v[82:83], s[24:25], -v[92:93]
	v_fma_f64 v[92:93], v[82:83], s[16:17], v[86:87]
	v_fma_f64 v[86:87], v[82:83], s[16:17], -v[86:87]
	v_add_f64 v[94:95], v[4:5], v[0:1]
	v_mul_f64 v[96:97], v[76:77], s[26:27]
	v_add_f64 v[52:53], v[20:21], v[52:53]
	v_fma_f64 v[98:99], v[82:83], s[14:15], v[88:89]
	v_fma_f64 v[82:83], v[82:83], s[14:15], -v[88:89]
	v_add_f64 v[72:73], v[80:81], v[72:73]
	v_mul_f64 v[80:81], v[76:77], s[36:37]
	v_add_f64 v[74:75], v[86:87], v[74:75]
	v_add_f64 v[58:59], v[90:91], v[58:59]
	v_fma_f64 v[86:87], v[94:95], s[24:25], v[96:97]
	v_add_f64 v[52:53], v[28:29], v[52:53]
	v_mul_f64 v[90:91], v[76:77], s[20:21]
	v_add_f64 v[82:83], v[82:83], v[40:41]
	v_fma_f64 v[40:41], v[94:95], s[24:25], -v[96:97]
	v_fma_f64 v[88:89], v[94:95], s[16:17], v[80:81]
	v_add_f64 v[78:79], v[92:93], v[78:79]
	v_fma_f64 v[80:81], v[94:95], s[16:17], -v[80:81]
	v_mul_f64 v[92:93], v[76:77], s[40:41]
	v_add_f64 v[54:55], v[86:87], v[54:55]
	v_mul_f64 v[86:87], v[76:77], s[18:19]
	v_mul_f64 v[76:77], v[76:77], s[30:31]
	v_add_f64 v[52:53], v[36:37], v[52:53]
	v_add_f64 v[40:41], v[40:41], v[56:57]
	;; [unrolled: 1-line block ×3, first 2 shown]
	v_fma_f64 v[62:63], v[94:95], s[22:23], v[90:91]
	v_add_f64 v[60:61], v[80:81], v[60:61]
	v_fma_f64 v[80:81], v[94:95], s[8:9], v[92:93]
	v_fma_f64 v[88:89], v[94:95], s[8:9], -v[92:93]
	v_fma_f64 v[92:93], v[94:95], s[14:15], v[86:87]
	v_add_f64 v[84:85], v[98:99], v[84:85]
	v_fma_f64 v[96:97], v[94:95], s[6:7], v[76:77]
	v_fma_f64 v[76:77], v[94:95], s[6:7], -v[76:77]
	v_fma_f64 v[86:87], v[94:95], s[14:15], -v[86:87]
	;; [unrolled: 1-line block ×3, first 2 shown]
	v_add_f64 v[52:53], v[48:49], v[52:53]
	v_add_f64 v[62:63], v[62:63], v[64:65]
	;; [unrolled: 1-line block ×9, first 2 shown]
	s_movk_i32 s0, 0x68
	v_mad_u32_u24 v86, v100, s0, 0
	s_movk_i32 s0, 0xffa0
	s_load_dwordx2 s[4:5], s[4:5], 0x0
	ds_write2_b64 v86, v[52:53], v[54:55] offset1:1
	ds_write2_b64 v86, v[56:57], v[62:63] offset0:2 offset1:3
	ds_write2_b64 v86, v[64:65], v[72:73] offset0:4 offset1:5
	;; [unrolled: 1-line block ×5, first 2 shown]
	ds_write_b64 v86, v[40:41] offset:96
	v_mad_i32_i24 v76, v100, s0, v86
	v_add_u32_e32 v52, 0xc00, v76
	v_add_u32_e32 v56, 0x1c00, v76
	v_lshl_add_u32 v105, v101, 3, 0
	v_add_u32_e32 v60, 0x1400, v76
	v_add_u32_e32 v64, 0x2400, v76
	s_waitcnt lgkmcnt(0)
	s_barrier
	ds_read2_b64 v[52:55], v52 offset0:123 offset1:240
	ds_read2_b64 v[56:59], v56 offset0:118 offset1:235
	v_lshl_add_u32 v106, v104, 3, 0
	ds_read_b64 v[74:75], v105
	ds_read_b64 v[72:73], v106
	ds_read2_b64 v[60:63], v60 offset0:101 offset1:218
	ds_read2_b64 v[64:67], v64 offset0:96 offset1:213
	v_lshl_add_u32 v107, v103, 3, 0
	ds_read_b64 v[78:79], v76
	ds_read_b64 v[76:77], v107
	v_mul_i32_i24_e32 v80, 0xffffffa0, v100
	v_cmp_gt_u32_e64 s[0:1], 39, v100
	v_add_u32_e32 v108, v86, v80
	v_lshl_add_u32 v109, v102, 3, 0
                                        ; implicit-def: $vgpr80_vgpr81
                                        ; implicit-def: $vgpr82_vgpr83
	s_and_saveexec_b64 s[48:49], s[0:1]
	s_cbranch_execz .LBB0_15
; %bb.14:
	ds_read_b64 v[82:83], v108 offset:7800
	ds_read_b64 v[40:41], v109
	ds_read_b64 v[80:81], v108 offset:11856
.LBB0_15:
	s_or_b64 exec, exec, s[48:49]
	v_add_f64 v[84:85], v[46:47], v[42:43]
	v_add_f64 v[44:45], v[44:45], -v[48:49]
	v_add_f64 v[46:47], v[50:51], v[46:47]
	v_add_f64 v[32:33], v[32:33], -v[36:37]
	v_add_f64 v[24:25], v[24:25], -v[28:29]
	;; [unrolled: 1-line block ×5, first 2 shown]
	v_add_f64 v[84:85], v[34:35], v[84:85]
	v_mul_f64 v[48:49], v[44:45], s[42:43]
	v_mul_f64 v[87:88], v[44:45], s[28:29]
	v_mul_f64 v[91:92], v[44:45], s[34:35]
	v_mul_f64 v[95:96], v[44:45], s[18:19]
	v_mul_f64 v[110:111], v[44:45], s[20:21]
	v_mul_f64 v[44:45], v[44:45], s[26:27]
	v_add_f64 v[34:35], v[38:39], v[34:35]
	v_add_f64 v[84:85], v[26:27], v[84:85]
	v_mul_f64 v[36:37], v[32:33], s[28:29]
	v_fma_f64 v[89:90], v[46:47], s[8:9], -v[87:88]
	v_fma_f64 v[87:88], v[46:47], s[8:9], v[87:88]
	v_fma_f64 v[93:94], v[46:47], s[6:7], -v[91:92]
	v_fma_f64 v[91:92], v[46:47], s[6:7], v[91:92]
	v_fma_f64 v[97:98], v[46:47], s[14:15], -v[95:96]
	v_fma_f64 v[95:96], v[46:47], s[14:15], v[95:96]
	v_add_f64 v[84:85], v[18:19], v[84:85]
	v_fma_f64 v[112:113], v[46:47], s[22:23], -v[110:111]
	v_fma_f64 v[110:111], v[46:47], s[22:23], v[110:111]
	v_fma_f64 v[114:115], v[46:47], s[24:25], -v[44:45]
	v_fma_f64 v[44:45], v[46:47], s[24:25], v[44:45]
	v_add_f64 v[89:90], v[42:43], v[89:90]
	v_add_f64 v[87:88], v[42:43], v[87:88]
	;; [unrolled: 1-line block ×12, first 2 shown]
	v_mul_f64 v[28:29], v[24:25], s[34:35]
	v_add_f64 v[18:19], v[22:23], v[18:19]
	v_mul_f64 v[20:21], v[16:17], s[18:19]
	v_add_f64 v[10:11], v[14:15], v[10:11]
	;; [unrolled: 2-line block ×4, first 2 shown]
	s_waitcnt lgkmcnt(0)
	s_barrier
	v_fma_f64 v[6:7], v[2:3], s[24:25], -v[4:5]
	v_add_f64 v[84:85], v[14:15], v[84:85]
	v_fma_f64 v[14:15], v[10:11], s[22:23], -v[12:13]
	v_fma_f64 v[12:13], v[10:11], s[22:23], v[12:13]
	v_fma_f64 v[4:5], v[2:3], s[24:25], v[4:5]
	v_add_f64 v[84:85], v[22:23], v[84:85]
	v_fma_f64 v[22:23], v[18:19], s[14:15], -v[20:21]
	v_fma_f64 v[20:21], v[18:19], s[14:15], v[20:21]
	v_add_f64 v[84:85], v[30:31], v[84:85]
	v_fma_f64 v[30:31], v[26:27], s[6:7], -v[28:29]
	;; [unrolled: 3-line block ×4, first 2 shown]
	v_fma_f64 v[48:49], v[46:47], s[16:17], v[48:49]
	v_add_f64 v[50:51], v[42:43], v[50:51]
	v_add_f64 v[48:49], v[42:43], v[48:49]
	;; [unrolled: 1-line block ×3, first 2 shown]
	v_mul_f64 v[44:45], v[32:33], s[18:19]
	v_add_f64 v[38:39], v[38:39], v[50:51]
	v_add_f64 v[36:37], v[36:37], v[48:49]
	v_mul_f64 v[48:49], v[32:33], s[26:27]
	v_fma_f64 v[46:47], v[34:35], s[14:15], -v[44:45]
	v_fma_f64 v[44:45], v[34:35], s[14:15], v[44:45]
	v_add_f64 v[30:31], v[30:31], v[38:39]
	v_add_f64 v[28:29], v[28:29], v[36:37]
	v_fma_f64 v[50:51], v[34:35], s[24:25], -v[48:49]
	v_fma_f64 v[48:49], v[34:35], s[24:25], v[48:49]
	v_add_f64 v[44:45], v[44:45], v[87:88]
	v_mul_f64 v[87:88], v[32:33], s[38:39]
	v_add_f64 v[46:47], v[46:47], v[89:90]
	v_mul_f64 v[38:39], v[24:25], s[46:47]
	v_add_f64 v[22:23], v[22:23], v[30:31]
	v_add_f64 v[20:21], v[20:21], v[28:29]
	;; [unrolled: 1-line block ×4, first 2 shown]
	v_mul_f64 v[91:92], v[32:33], s[30:31]
	v_fma_f64 v[89:90], v[34:35], s[22:23], -v[87:88]
	v_fma_f64 v[87:88], v[34:35], s[22:23], v[87:88]
	v_mul_f64 v[32:33], v[32:33], s[36:37]
	v_mul_f64 v[30:31], v[16:17], s[36:37]
	v_add_f64 v[14:15], v[14:15], v[22:23]
	v_add_f64 v[12:13], v[12:13], v[20:21]
	v_mul_f64 v[22:23], v[8:9], s[28:29]
	v_fma_f64 v[93:94], v[34:35], s[6:7], -v[91:92]
	v_fma_f64 v[91:92], v[34:35], s[6:7], v[91:92]
	v_add_f64 v[87:88], v[87:88], v[95:96]
	v_fma_f64 v[95:96], v[34:35], s[16:17], -v[32:33]
	v_fma_f64 v[32:33], v[34:35], s[16:17], v[32:33]
	v_mul_f64 v[34:35], v[24:25], s[26:27]
	v_add_f64 v[89:90], v[89:90], v[97:98]
	v_add_f64 v[6:7], v[6:7], v[14:15]
	;; [unrolled: 1-line block ×6, first 2 shown]
	v_fma_f64 v[36:37], v[26:27], s[24:25], -v[34:35]
	v_fma_f64 v[34:35], v[26:27], s[24:25], v[34:35]
	v_fma_f64 v[42:43], v[26:27], s[14:15], -v[38:39]
	v_fma_f64 v[38:39], v[26:27], s[14:15], v[38:39]
	v_add_f64 v[36:37], v[36:37], v[46:47]
	v_add_f64 v[34:35], v[34:35], v[44:45]
	v_mul_f64 v[44:45], v[24:25], s[36:37]
	v_add_f64 v[38:39], v[38:39], v[48:49]
	v_mul_f64 v[48:49], v[24:25], s[28:29]
	v_mul_f64 v[24:25], v[24:25], s[20:21]
	v_add_f64 v[42:43], v[42:43], v[50:51]
	v_fma_f64 v[46:47], v[26:27], s[16:17], -v[44:45]
	v_fma_f64 v[44:45], v[26:27], s[16:17], v[44:45]
	v_fma_f64 v[50:51], v[26:27], s[8:9], -v[48:49]
	v_fma_f64 v[48:49], v[26:27], s[8:9], v[48:49]
	v_add_f64 v[46:47], v[46:47], v[89:90]
	v_add_f64 v[44:45], v[44:45], v[87:88]
	v_fma_f64 v[87:88], v[26:27], s[22:23], -v[24:25]
	v_fma_f64 v[24:25], v[26:27], s[22:23], v[24:25]
	v_mul_f64 v[26:27], v[16:17], s[38:39]
	v_add_f64 v[50:51], v[50:51], v[93:94]
	v_add_f64 v[48:49], v[48:49], v[91:92]
	v_add_f64 v[87:88], v[87:88], v[95:96]
	v_add_f64 v[24:25], v[24:25], v[32:33]
	v_fma_f64 v[28:29], v[18:19], s[22:23], -v[26:27]
	v_fma_f64 v[26:27], v[18:19], s[22:23], v[26:27]
	v_fma_f64 v[32:33], v[18:19], s[16:17], -v[30:31]
	v_fma_f64 v[30:31], v[18:19], s[16:17], v[30:31]
	v_add_f64 v[28:29], v[28:29], v[36:37]
	v_add_f64 v[26:27], v[26:27], v[34:35]
	v_mul_f64 v[34:35], v[16:17], s[34:35]
	v_add_f64 v[30:31], v[30:31], v[38:39]
	v_mul_f64 v[38:39], v[16:17], s[44:45]
	v_mul_f64 v[16:17], v[16:17], s[40:41]
	v_add_f64 v[32:33], v[32:33], v[42:43]
	v_fma_f64 v[36:37], v[18:19], s[6:7], -v[34:35]
	v_fma_f64 v[34:35], v[18:19], s[6:7], v[34:35]
	v_fma_f64 v[42:43], v[18:19], s[24:25], -v[38:39]
	v_fma_f64 v[38:39], v[18:19], s[24:25], v[38:39]
	v_add_f64 v[36:37], v[36:37], v[46:47]
	v_add_f64 v[34:35], v[34:35], v[44:45]
	v_fma_f64 v[44:45], v[18:19], s[8:9], -v[16:17]
	v_fma_f64 v[16:17], v[18:19], s[8:9], v[16:17]
	v_mul_f64 v[18:19], v[8:9], s[30:31]
	v_add_f64 v[42:43], v[42:43], v[50:51]
	v_add_f64 v[38:39], v[38:39], v[48:49]
	;; [unrolled: 1-line block ×4, first 2 shown]
	v_fma_f64 v[20:21], v[10:11], s[6:7], -v[18:19]
	v_fma_f64 v[18:19], v[10:11], s[6:7], v[18:19]
	v_fma_f64 v[24:25], v[10:11], s[8:9], -v[22:23]
	v_fma_f64 v[22:23], v[10:11], s[8:9], v[22:23]
	v_add_f64 v[20:21], v[20:21], v[28:29]
	v_add_f64 v[18:19], v[18:19], v[26:27]
	v_mul_f64 v[26:27], v[8:9], s[44:45]
	v_add_f64 v[22:23], v[22:23], v[30:31]
	v_mul_f64 v[30:31], v[8:9], s[36:37]
	v_mul_f64 v[8:9], v[8:9], s[18:19]
	v_add_f64 v[24:25], v[24:25], v[32:33]
	v_fma_f64 v[28:29], v[10:11], s[24:25], -v[26:27]
	v_fma_f64 v[26:27], v[10:11], s[24:25], v[26:27]
	v_fma_f64 v[32:33], v[10:11], s[16:17], -v[30:31]
	v_fma_f64 v[30:31], v[10:11], s[16:17], v[30:31]
	v_add_f64 v[28:29], v[28:29], v[36:37]
	v_add_f64 v[26:27], v[26:27], v[34:35]
	v_fma_f64 v[34:35], v[10:11], s[14:15], -v[8:9]
	v_fma_f64 v[8:9], v[10:11], s[14:15], v[8:9]
	v_add_f64 v[32:33], v[32:33], v[42:43]
	v_add_f64 v[30:31], v[30:31], v[38:39]
	;; [unrolled: 1-line block ×5, first 2 shown]
	v_mul_f64 v[4:5], v[0:1], s[36:37]
	v_mul_f64 v[12:13], v[0:1], s[20:21]
	v_fma_f64 v[10:11], v[2:3], s[16:17], -v[4:5]
	v_fma_f64 v[4:5], v[2:3], s[16:17], v[4:5]
	v_fma_f64 v[14:15], v[2:3], s[22:23], -v[12:13]
	v_fma_f64 v[12:13], v[2:3], s[22:23], v[12:13]
	v_add_f64 v[10:11], v[10:11], v[20:21]
	v_add_f64 v[4:5], v[4:5], v[18:19]
	v_mul_f64 v[18:19], v[0:1], s[40:41]
	v_add_f64 v[12:13], v[12:13], v[22:23]
	v_mul_f64 v[22:23], v[0:1], s[18:19]
	v_mul_f64 v[0:1], v[0:1], s[30:31]
	v_add_f64 v[14:15], v[14:15], v[24:25]
	v_fma_f64 v[20:21], v[2:3], s[8:9], -v[18:19]
	v_fma_f64 v[18:19], v[2:3], s[8:9], v[18:19]
	v_fma_f64 v[24:25], v[2:3], s[14:15], -v[22:23]
	v_fma_f64 v[22:23], v[2:3], s[14:15], v[22:23]
	v_add_f64 v[20:21], v[20:21], v[28:29]
	v_add_f64 v[18:19], v[18:19], v[26:27]
	v_fma_f64 v[26:27], v[2:3], s[6:7], -v[0:1]
	v_fma_f64 v[0:1], v[2:3], s[6:7], v[0:1]
	v_add_f64 v[24:25], v[24:25], v[32:33]
	v_add_f64 v[22:23], v[22:23], v[30:31]
                                        ; implicit-def: $vgpr28_vgpr29
	v_add_f64 v[26:27], v[26:27], v[34:35]
	v_add_f64 v[0:1], v[0:1], v[8:9]
	ds_write2_b64 v86, v[84:85], v[6:7] offset1:1
	ds_write2_b64 v86, v[10:11], v[14:15] offset0:2 offset1:3
	ds_write2_b64 v86, v[20:21], v[24:25] offset0:4 offset1:5
	;; [unrolled: 1-line block ×5, first 2 shown]
	ds_write_b64 v86, v[16:17] offset:96
	v_add_u32_e32 v0, 0xc00, v108
	s_waitcnt lgkmcnt(0)
	s_barrier
	ds_read2_b64 v[8:11], v0 offset0:123 offset1:240
	v_add_u32_e32 v0, 0x1c00, v108
	ds_read_b64 v[22:23], v108
	ds_read2_b64 v[12:15], v0 offset0:118 offset1:235
	ds_read_b64 v[24:25], v105
	ds_read_b64 v[18:19], v106
	v_add_u32_e32 v0, 0x1400, v108
	v_add_u32_e32 v4, 0x2400, v108
	ds_read2_b64 v[0:3], v0 offset0:101 offset1:218
	ds_read2_b64 v[4:7], v4 offset0:96 offset1:213
	ds_read_b64 v[20:21], v107
                                        ; implicit-def: $vgpr26_vgpr27
	s_and_saveexec_b64 s[6:7], s[0:1]
	s_cbranch_execz .LBB0_17
; %bb.16:
	ds_read_b64 v[28:29], v108 offset:7800
	ds_read_b64 v[16:17], v109
	ds_read_b64 v[26:27], v108 offset:11856
.LBB0_17:
	s_or_b64 exec, exec, s[6:7]
	s_movk_i32 s6, 0x4f
	v_mul_lo_u16_sdwa v30, v100, s6 dst_sel:DWORD dst_unused:UNUSED_PAD src0_sel:BYTE_0 src1_sel:DWORD
	v_lshrrev_b16_e32 v38, 10, v30
	v_mul_lo_u16_e32 v30, 13, v38
	v_sub_u16_e32 v39, v100, v30
	v_mov_b32_e32 v42, 5
	v_lshlrev_b32_sdwa v43, v42, v39 dst_sel:DWORD dst_unused:UNUSED_PAD src0_sel:DWORD src1_sel:BYTE_0
	global_load_dwordx4 v[30:33], v43, s[12:13] offset:16
	global_load_dwordx4 v[34:37], v43, s[12:13]
	v_mul_lo_u16_sdwa v43, v101, s6 dst_sel:DWORD dst_unused:UNUSED_PAD src0_sel:BYTE_0 src1_sel:DWORD
	v_lshrrev_b16_e32 v50, 10, v43
	v_mul_lo_u16_e32 v43, 13, v50
	v_sub_u16_e32 v131, v101, v43
	v_lshlrev_b32_sdwa v51, v42, v131 dst_sel:DWORD dst_unused:UNUSED_PAD src0_sel:DWORD src1_sel:BYTE_0
	s_movk_i32 s6, 0x4ec5
	global_load_dwordx4 v[42:45], v51, s[12:13] offset:16
	global_load_dwordx4 v[46:49], v51, s[12:13]
	v_mul_u32_u24_sdwa v51, v104, s6 dst_sel:DWORD dst_unused:UNUSED_PAD src0_sel:WORD_0 src1_sel:DWORD
	v_lshrrev_b32_e32 v149, 18, v51
	v_mul_lo_u16_e32 v51, 13, v149
	v_sub_u16_e32 v150, v104, v51
	v_lshlrev_b32_e32 v51, 5, v150
	global_load_dwordx4 v[111:114], v51, s[12:13] offset:16
	global_load_dwordx4 v[115:118], v51, s[12:13]
	v_mul_u32_u24_sdwa v51, v103, s6 dst_sel:DWORD dst_unused:UNUSED_PAD src0_sel:WORD_0 src1_sel:DWORD
	v_lshrrev_b32_e32 v151, 18, v51
	v_mul_lo_u16_e32 v51, 13, v151
	v_sub_u16_e32 v152, v103, v51
	v_lshlrev_b32_e32 v51, 5, v152
	;; [unrolled: 7-line block ×3, first 2 shown]
	global_load_dwordx4 v[127:130], v51, s[12:13]
	global_load_dwordx4 v[133:136], v51, s[12:13] offset:16
	v_mov_b32_e32 v155, 3
	v_mul_u32_u24_e32 v38, 0x138, v38
	v_lshlrev_b32_sdwa v39, v155, v39 dst_sel:DWORD dst_unused:UNUSED_PAD src0_sel:DWORD src1_sel:BYTE_0
	v_mul_u32_u24_e32 v156, 0x138, v50
	v_add3_u32 v110, 0, v38, v39
	s_mov_b32 s6, 0xe8584caa
	s_mov_b32 s7, 0xbfebb67a
	;; [unrolled: 1-line block ×4, first 2 shown]
	s_waitcnt vmcnt(0) lgkmcnt(0)
	s_barrier
	v_mul_f64 v[50:51], v[12:13], v[32:33]
	v_mul_f64 v[38:39], v[8:9], v[36:37]
	;; [unrolled: 1-line block ×7, first 2 shown]
	v_fma_f64 v[90:91], v[52:53], v[34:35], v[38:39]
	v_fma_f64 v[94:95], v[56:57], v[30:31], v[50:51]
	v_mul_f64 v[44:45], v[58:59], v[44:45]
	v_mul_f64 v[139:140], v[4:5], v[113:114]
	;; [unrolled: 1-line block ×5, first 2 shown]
	v_fma_f64 v[88:89], v[54:55], v[46:47], v[86:87]
	v_fma_f64 v[96:97], v[10:11], v[46:47], -v[48:49]
	v_mul_f64 v[143:144], v[6:7], v[121:122]
	v_mul_f64 v[141:142], v[2:3], v[125:126]
	;; [unrolled: 1-line block ×4, first 2 shown]
	v_fma_f64 v[92:93], v[58:59], v[42:43], v[92:93]
	v_fma_f64 v[48:49], v[60:61], v[115:116], v[137:138]
	v_mul_f64 v[145:146], v[28:29], v[129:130]
	v_mul_f64 v[129:130], v[82:83], v[129:130]
	v_mul_f64 v[147:148], v[26:27], v[135:136]
	v_mul_f64 v[135:136], v[80:81], v[135:136]
	v_fma_f64 v[52:53], v[64:65], v[111:112], v[139:140]
	v_fma_f64 v[50:51], v[62:63], v[123:124], v[141:142]
	;; [unrolled: 1-line block ×3, first 2 shown]
	v_fma_f64 v[98:99], v[8:9], v[34:35], -v[36:37]
	v_fma_f64 v[54:55], v[82:83], v[127:128], v[145:146]
	v_fma_f64 v[62:63], v[28:29], v[127:128], -v[129:130]
	v_fma_f64 v[28:29], v[80:81], v[133:134], v[147:148]
	v_fma_f64 v[84:85], v[12:13], v[30:31], -v[32:33]
	v_fma_f64 v[60:61], v[2:3], v[123:124], -v[125:126]
	v_add_f64 v[2:3], v[90:91], v[94:95]
	v_fma_f64 v[86:87], v[14:15], v[42:43], -v[44:45]
	v_fma_f64 v[56:57], v[0:1], v[115:116], -v[117:118]
	;; [unrolled: 1-line block ×5, first 2 shown]
	v_add_f64 v[8:9], v[88:89], v[92:93]
	v_add_f64 v[14:15], v[48:49], v[52:53]
	;; [unrolled: 1-line block ×5, first 2 shown]
	v_add_f64 v[4:5], v[98:99], -v[84:85]
	v_add_f64 v[32:33], v[76:77], v[50:51]
	v_add_f64 v[44:45], v[40:41], v[54:55]
	v_fma_f64 v[2:3], v[2:3], -0.5, v[78:79]
	v_add_f64 v[6:7], v[74:75], v[88:89]
	v_add_f64 v[10:11], v[96:97], -v[86:87]
	v_add_f64 v[12:13], v[72:73], v[48:49]
	v_add_f64 v[36:37], v[56:57], -v[30:31]
	v_add_f64 v[42:43], v[60:61], -v[34:35]
	;; [unrolled: 1-line block ×3, first 2 shown]
	v_fma_f64 v[8:9], v[8:9], -0.5, v[74:75]
	v_fma_f64 v[14:15], v[14:15], -0.5, v[72:73]
	;; [unrolled: 1-line block ×4, first 2 shown]
	v_add_f64 v[0:1], v[0:1], v[94:95]
	v_add_f64 v[73:74], v[32:33], v[58:59]
	;; [unrolled: 1-line block ×3, first 2 shown]
	v_fma_f64 v[44:45], v[4:5], s[6:7], v[2:3]
	v_fma_f64 v[2:3], v[4:5], s[8:9], v[2:3]
	v_add_f64 v[6:7], v[6:7], v[92:93]
	v_add_f64 v[12:13], v[12:13], v[52:53]
	v_fma_f64 v[4:5], v[10:11], s[6:7], v[8:9]
	v_fma_f64 v[8:9], v[10:11], s[8:9], v[8:9]
	;; [unrolled: 1-line block ×8, first 2 shown]
	ds_write2_b64 v110, v[0:1], v[44:45] offset1:13
	ds_write_b64 v110, v[2:3] offset:208
	v_lshlrev_b32_sdwa v0, v155, v131 dst_sel:DWORD dst_unused:UNUSED_PAD src0_sel:DWORD src1_sel:BYTE_0
	v_add3_u32 v64, 0, v156, v0
	v_mul_u32_u24_e32 v0, 0x138, v149
	v_lshlrev_b32_e32 v1, 3, v150
	v_add3_u32 v67, 0, v0, v1
	v_mul_u32_u24_e32 v0, 0x138, v151
	v_lshlrev_b32_e32 v1, 3, v152
	v_add3_u32 v72, 0, v0, v1
	v_mul_lo_u16_e32 v65, 39, v153
	v_lshlrev_b32_e32 v66, 3, v154
	ds_write2_b64 v64, v[6:7], v[4:5] offset1:13
	ds_write_b64 v64, v[8:9] offset:208
	ds_write2_b64 v67, v[12:13], v[10:11] offset1:13
	ds_write_b64 v67, v[14:15] offset:208
	;; [unrolled: 2-line block ×3, first 2 shown]
	s_and_saveexec_b64 s[6:7], s[0:1]
	s_cbranch_execz .LBB0_19
; %bb.18:
	v_lshlrev_b32_e32 v0, 3, v65
	v_add3_u32 v0, 0, v66, v0
	ds_write2_b64 v0, v[32:33], v[36:37] offset1:13
	ds_write_b64 v0, v[38:39] offset:208
.LBB0_19:
	s_or_b64 exec, exec, s[6:7]
	v_add_u32_e32 v0, 0xc00, v108
	v_add_u32_e32 v4, 0x1c00, v108
	;; [unrolled: 1-line block ×4, first 2 shown]
	s_waitcnt lgkmcnt(0)
	s_barrier
	ds_read2_b64 v[0:3], v0 offset0:123 offset1:240
	ds_read2_b64 v[4:7], v4 offset0:118 offset1:235
	ds_read_b64 v[42:43], v105
	ds_read_b64 v[40:41], v106
	ds_read2_b64 v[8:11], v8 offset0:101 offset1:218
	ds_read2_b64 v[12:15], v12 offset0:96 offset1:213
	ds_read_b64 v[46:47], v108
	ds_read_b64 v[44:45], v107
	s_and_saveexec_b64 s[6:7], s[0:1]
	s_cbranch_execz .LBB0_21
; %bb.20:
	ds_read_b64 v[36:37], v108 offset:7800
	ds_read_b64 v[32:33], v109
	ds_read_b64 v[38:39], v108 offset:11856
.LBB0_21:
	s_or_b64 exec, exec, s[6:7]
	v_add_f64 v[73:74], v[98:99], v[84:85]
	v_add_f64 v[77:78], v[96:97], v[86:87]
	;; [unrolled: 1-line block ×4, first 2 shown]
	v_add_f64 v[79:80], v[90:91], -v[94:95]
	s_mov_b32 s6, 0xe8584caa
	s_mov_b32 s7, 0x3febb67a
	s_mov_b32 s9, 0xbfebb67a
	v_fma_f64 v[22:23], v[73:74], -0.5, v[22:23]
	v_add_f64 v[73:74], v[88:89], -v[92:93]
	v_fma_f64 v[24:25], v[77:78], -0.5, v[24:25]
	s_mov_b32 s8, s6
	v_add_f64 v[77:78], v[56:57], v[30:31]
	v_add_f64 v[75:76], v[75:76], v[84:85]
	v_add_f64 v[81:82], v[81:82], v[86:87]
	v_add_f64 v[56:57], v[18:19], v[56:57]
	v_fma_f64 v[83:84], v[79:80], s[6:7], v[22:23]
	v_fma_f64 v[22:23], v[79:80], s[8:9], v[22:23]
	;; [unrolled: 1-line block ×4, first 2 shown]
	v_add_f64 v[73:74], v[62:63], v[26:27]
	v_add_f64 v[79:80], v[60:61], v[34:35]
	v_fma_f64 v[18:19], v[77:78], -0.5, v[18:19]
	v_add_f64 v[48:49], v[48:49], -v[52:53]
	v_add_f64 v[52:53], v[20:21], v[60:61]
	v_add_f64 v[50:51], v[50:51], -v[58:59]
	v_add_f64 v[58:59], v[16:17], v[62:63]
	v_add_f64 v[28:29], v[54:55], -v[28:29]
	v_fma_f64 v[16:17], v[73:74], -0.5, v[16:17]
	v_fma_f64 v[20:21], v[79:80], -0.5, v[20:21]
	v_add_f64 v[30:31], v[56:57], v[30:31]
	v_fma_f64 v[54:55], v[48:49], s[6:7], v[18:19]
	v_fma_f64 v[18:19], v[48:49], s[8:9], v[18:19]
	v_add_f64 v[48:49], v[52:53], v[34:35]
	v_add_f64 v[34:35], v[58:59], v[26:27]
	s_waitcnt lgkmcnt(0)
	v_fma_f64 v[56:57], v[28:29], s[6:7], v[16:17]
	v_fma_f64 v[58:59], v[28:29], s[8:9], v[16:17]
	;; [unrolled: 1-line block ×4, first 2 shown]
	s_barrier
	ds_write2_b64 v110, v[75:76], v[83:84] offset1:13
	ds_write_b64 v110, v[22:23] offset:208
	ds_write2_b64 v64, v[81:82], v[85:86] offset1:13
	ds_write_b64 v64, v[24:25] offset:208
	;; [unrolled: 2-line block ×4, first 2 shown]
	s_and_saveexec_b64 s[6:7], s[0:1]
	s_cbranch_execz .LBB0_23
; %bb.22:
	v_lshlrev_b32_e32 v16, 3, v65
	v_add3_u32 v16, 0, v66, v16
	ds_write2_b64 v16, v[34:35], v[56:57] offset1:13
	ds_write_b64 v16, v[58:59] offset:208
.LBB0_23:
	s_or_b64 exec, exec, s[6:7]
	v_add_u32_e32 v16, 0xc00, v108
	v_add_u32_e32 v20, 0x1c00, v108
	;; [unrolled: 1-line block ×4, first 2 shown]
	s_waitcnt lgkmcnt(0)
	s_barrier
	ds_read2_b64 v[16:19], v16 offset0:123 offset1:240
	ds_read2_b64 v[20:23], v20 offset0:118 offset1:235
	ds_read_b64 v[50:51], v105
	ds_read_b64 v[48:49], v106
	ds_read2_b64 v[24:27], v24 offset0:101 offset1:218
	ds_read2_b64 v[28:31], v28 offset0:96 offset1:213
	ds_read_b64 v[54:55], v108
	ds_read_b64 v[52:53], v107
	s_and_saveexec_b64 s[6:7], s[0:1]
	s_cbranch_execz .LBB0_25
; %bb.24:
	ds_read_b64 v[56:57], v108 offset:7800
	ds_read_b64 v[34:35], v109
	ds_read_b64 v[58:59], v108 offset:11856
.LBB0_25:
	s_or_b64 exec, exec, s[6:7]
	s_movk_i32 s6, 0xa5
	v_mul_lo_u16_sdwa v60, v100, s6 dst_sel:DWORD dst_unused:UNUSED_PAD src0_sel:BYTE_0 src1_sel:DWORD
	v_sub_u16_sdwa v61, v100, v60 dst_sel:DWORD dst_unused:UNUSED_PAD src0_sel:DWORD src1_sel:BYTE_1
	v_lshrrev_b16_e32 v61, 1, v61
	v_and_b32_e32 v61, 0x7f, v61
	v_add_u16_sdwa v60, v61, v60 dst_sel:DWORD dst_unused:UNUSED_PAD src0_sel:DWORD src1_sel:BYTE_1
	v_lshrrev_b16_e32 v60, 5, v60
	v_and_b32_e32 v133, 7, v60
	v_mul_lo_u16_e32 v60, 39, v133
	v_sub_u16_e32 v134, v100, v60
	v_mov_b32_e32 v60, 5
	v_lshlrev_b32_sdwa v61, v60, v134 dst_sel:DWORD dst_unused:UNUSED_PAD src0_sel:DWORD src1_sel:BYTE_0
	global_load_dwordx4 v[72:75], v61, s[12:13] offset:432
	global_load_dwordx4 v[76:79], v61, s[12:13] offset:416
	v_mul_lo_u16_sdwa v61, v101, s6 dst_sel:DWORD dst_unused:UNUSED_PAD src0_sel:BYTE_0 src1_sel:DWORD
	s_mov_b32 s6, 0xa41b
	v_mul_u32_u24_sdwa v63, v104, s6 dst_sel:DWORD dst_unused:UNUSED_PAD src0_sel:WORD_0 src1_sel:DWORD
	v_sub_u16_sdwa v64, v104, v63 dst_sel:DWORD dst_unused:UNUSED_PAD src0_sel:DWORD src1_sel:WORD_1
	v_lshrrev_b16_e32 v64, 1, v64
	v_add_u16_sdwa v63, v64, v63 dst_sel:DWORD dst_unused:UNUSED_PAD src0_sel:DWORD src1_sel:WORD_1
	v_lshrrev_b16_e32 v135, 5, v63
	v_mul_lo_u16_e32 v63, 39, v135
	v_sub_u16_e32 v136, v104, v63
	v_lshlrev_b32_e32 v63, 5, v136
	global_load_dwordx4 v[64:67], v63, s[12:13] offset:432
	global_load_dwordx4 v[80:83], v63, s[12:13] offset:416
	v_mul_u32_u24_sdwa v63, v103, s6 dst_sel:DWORD dst_unused:UNUSED_PAD src0_sel:WORD_0 src1_sel:DWORD
	v_sub_u16_sdwa v84, v103, v63 dst_sel:DWORD dst_unused:UNUSED_PAD src0_sel:DWORD src1_sel:WORD_1
	v_lshrrev_b16_e32 v84, 1, v84
	v_add_u16_sdwa v63, v84, v63 dst_sel:DWORD dst_unused:UNUSED_PAD src0_sel:DWORD src1_sel:WORD_1
	v_lshrrev_b16_e32 v137, 5, v63
	v_mul_lo_u16_e32 v63, 39, v137
	v_sub_u16_e32 v138, v103, v63
	v_sub_u16_sdwa v62, v101, v61 dst_sel:DWORD dst_unused:UNUSED_PAD src0_sel:DWORD src1_sel:BYTE_1
	v_lshlrev_b32_e32 v63, 5, v138
	v_lshrrev_b16_e32 v62, 1, v62
	global_load_dwordx4 v[84:87], v63, s[12:13] offset:432
	global_load_dwordx4 v[88:91], v63, s[12:13] offset:416
	v_mul_u32_u24_sdwa v63, v102, s6 dst_sel:DWORD dst_unused:UNUSED_PAD src0_sel:WORD_0 src1_sel:DWORD
	v_sub_u16_sdwa v92, v102, v63 dst_sel:DWORD dst_unused:UNUSED_PAD src0_sel:DWORD src1_sel:WORD_1
	v_and_b32_e32 v62, 0x7f, v62
	v_lshrrev_b16_e32 v92, 1, v92
	v_add_u16_sdwa v61, v62, v61 dst_sel:DWORD dst_unused:UNUSED_PAD src0_sel:DWORD src1_sel:BYTE_1
	v_add_u16_sdwa v63, v92, v63 dst_sel:DWORD dst_unused:UNUSED_PAD src0_sel:DWORD src1_sel:WORD_1
	v_lshrrev_b16_e32 v61, 5, v61
	v_lshrrev_b16_e32 v63, 5, v63
	v_and_b32_e32 v140, 7, v61
	v_mul_lo_u16_e32 v63, 39, v63
	v_mul_lo_u16_e32 v61, 39, v140
	v_sub_u16_e32 v139, v102, v63
	v_sub_u16_e32 v141, v101, v61
	v_lshlrev_b32_e32 v63, 5, v139
	v_lshlrev_b32_sdwa v60, v60, v141 dst_sel:DWORD dst_unused:UNUSED_PAD src0_sel:DWORD src1_sel:BYTE_0
	global_load_dwordx4 v[92:95], v63, s[12:13] offset:432
	global_load_dwordx4 v[96:99], v63, s[12:13] offset:416
	;; [unrolled: 1-line block ×4, first 2 shown]
	s_mov_b32 s6, 0xe8584caa
	s_mov_b32 s7, 0xbfebb67a
	;; [unrolled: 1-line block ×4, first 2 shown]
	s_movk_i32 s14, 0x3a8
	s_waitcnt vmcnt(0) lgkmcnt(0)
	s_barrier
	v_mul_f64 v[126:127], v[20:21], v[74:75]
	v_mul_f64 v[124:125], v[16:17], v[78:79]
	;; [unrolled: 1-line block ×8, first 2 shown]
	v_fma_f64 v[60:61], v[8:9], v[80:81], v[60:61]
	v_fma_f64 v[66:67], v[24:25], v[80:81], -v[62:63]
	v_mul_f64 v[118:119], v[30:31], v[86:87]
	v_mul_f64 v[116:117], v[26:27], v[90:91]
	;; [unrolled: 1-line block ×4, first 2 shown]
	v_fma_f64 v[62:63], v[12:13], v[64:65], v[82:83]
	v_fma_f64 v[8:9], v[28:29], v[64:65], -v[114:115]
	v_fma_f64 v[14:15], v[14:15], v[84:85], v[118:119]
	v_fma_f64 v[12:13], v[10:11], v[88:89], v[116:117]
	v_fma_f64 v[64:65], v[26:27], v[88:89], -v[90:91]
	v_fma_f64 v[10:11], v[30:31], v[84:85], -v[86:87]
	v_mul_f64 v[122:123], v[58:59], v[94:95]
	v_mul_f64 v[120:121], v[56:57], v[98:99]
	;; [unrolled: 1-line block ×8, first 2 shown]
	v_fma_f64 v[28:29], v[38:39], v[92:93], v[122:123]
	v_fma_f64 v[26:27], v[36:37], v[96:97], v[120:121]
	;; [unrolled: 1-line block ×6, first 2 shown]
	v_fma_f64 v[30:31], v[56:57], v[96:97], -v[98:99]
	v_fma_f64 v[24:25], v[58:59], v[92:93], -v[94:95]
	;; [unrolled: 1-line block ×6, first 2 shown]
	v_add_f64 v[18:19], v[40:41], v[60:61]
	v_add_f64 v[20:21], v[60:61], v[62:63]
	;; [unrolled: 1-line block ×5, first 2 shown]
	v_add_f64 v[22:23], v[66:67], -v[8:9]
	v_add_f64 v[80:81], v[46:47], v[36:37]
	v_add_f64 v[82:83], v[56:57], -v[4:5]
	v_add_f64 v[84:85], v[42:43], v[2:3]
	v_add_f64 v[72:73], v[44:45], v[12:13]
	v_fma_f64 v[46:47], v[58:59], -0.5, v[46:47]
	v_add_f64 v[58:59], v[16:17], -v[0:1]
	v_fma_f64 v[42:43], v[74:75], -0.5, v[42:43]
	v_add_f64 v[74:75], v[18:19], v[62:63]
	v_fma_f64 v[18:19], v[20:21], -0.5, v[40:41]
	v_add_f64 v[78:79], v[64:65], -v[10:11]
	v_fma_f64 v[20:21], v[76:77], -0.5, v[44:45]
	v_add_f64 v[40:41], v[80:81], v[38:39]
	v_add_f64 v[44:45], v[84:85], v[6:7]
	v_fma_f64 v[76:77], v[82:83], s[6:7], v[46:47]
	v_fma_f64 v[80:81], v[58:59], s[6:7], v[42:43]
	;; [unrolled: 1-line block ×6, first 2 shown]
	v_add_f64 v[72:73], v[72:73], v[14:15]
	v_fma_f64 v[82:83], v[78:79], s[6:7], v[20:21]
	v_fma_f64 v[78:79], v[78:79], s[8:9], v[20:21]
	v_mov_b32_e32 v20, 3
	v_mul_u32_u24_sdwa v18, v133, s14 dst_sel:DWORD dst_unused:UNUSED_PAD src0_sel:WORD_0 src1_sel:DWORD
	v_lshlrev_b32_sdwa v19, v20, v134 dst_sel:DWORD dst_unused:UNUSED_PAD src0_sel:DWORD src1_sel:BYTE_0
	v_add3_u32 v19, 0, v18, v19
	v_mul_u32_u24_sdwa v18, v140, s14 dst_sel:DWORD dst_unused:UNUSED_PAD src0_sel:WORD_0 src1_sel:DWORD
	v_lshlrev_b32_sdwa v20, v20, v141 dst_sel:DWORD dst_unused:UNUSED_PAD src0_sel:DWORD src1_sel:BYTE_0
	v_add3_u32 v20, 0, v18, v20
	v_mul_u32_u24_e32 v18, 0x3a8, v135
	v_lshlrev_b32_e32 v21, 3, v136
	v_add3_u32 v21, 0, v18, v21
	ds_write2_b64 v19, v[40:41], v[76:77] offset1:39
	ds_write_b64 v19, v[46:47] offset:624
	ds_write2_b64 v20, v[44:45], v[80:81] offset1:39
	ds_write_b64 v20, v[42:43] offset:624
	;; [unrolled: 2-line block ×3, first 2 shown]
	v_mul_u32_u24_e32 v18, 0x3a8, v137
	v_lshlrev_b32_e32 v22, 3, v138
	v_add3_u32 v22, 0, v18, v22
	v_lshl_add_u32 v18, v139, 3, 0
	ds_write2_b64 v22, v[72:73], v[82:83] offset1:39
	ds_write_b64 v22, v[78:79] offset:624
	s_and_saveexec_b64 s[14:15], s[0:1]
	s_cbranch_execz .LBB0_27
; %bb.26:
	v_add_f64 v[40:41], v[26:27], v[28:29]
	v_add_f64 v[42:43], v[30:31], -v[24:25]
	v_add_f64 v[44:45], v[32:33], v[26:27]
	v_add_u32_e32 v23, 0x2800, v18
	v_fma_f64 v[32:33], v[40:41], -0.5, v[32:33]
	v_add_f64 v[40:41], v[44:45], v[28:29]
	v_fma_f64 v[44:45], v[42:43], s[6:7], v[32:33]
	v_fma_f64 v[32:33], v[42:43], s[8:9], v[32:33]
	ds_write2_b64 v23, v[40:41], v[44:45] offset0:124 offset1:163
	ds_write_b64 v18, v[32:33] offset:11856
.LBB0_27:
	s_or_b64 exec, exec, s[14:15]
	v_add_f64 v[32:33], v[56:57], v[4:5]
	v_add_f64 v[40:41], v[54:55], v[56:57]
	v_add_f64 v[36:37], v[36:37], -v[38:39]
	v_add_f64 v[38:39], v[50:51], v[16:17]
	v_add_f64 v[16:17], v[16:17], v[0:1]
	v_add_f64 v[2:3], v[2:3], -v[6:7]
	v_add_f64 v[6:7], v[66:67], v[8:9]
	v_add_f64 v[44:45], v[64:65], v[10:11]
	v_fma_f64 v[32:33], v[32:33], -0.5, v[54:55]
	v_add_f64 v[42:43], v[48:49], v[66:67]
	v_add_f64 v[54:55], v[52:53], v[64:65]
	v_add_f64 v[12:13], v[12:13], -v[14:15]
	v_fma_f64 v[16:17], v[16:17], -0.5, v[50:51]
	v_add_f64 v[50:51], v[40:41], v[4:5]
	v_fma_f64 v[4:5], v[6:7], -0.5, v[48:49]
	v_fma_f64 v[6:7], v[44:45], -0.5, v[52:53]
	v_add_f64 v[46:47], v[60:61], -v[62:63]
	v_add_f64 v[44:45], v[38:39], v[0:1]
	v_add_u32_e32 v0, 0x1000, v108
	v_fma_f64 v[48:49], v[36:37], s[8:9], v[32:33]
	v_fma_f64 v[56:57], v[36:37], s[6:7], v[32:33]
	v_add_f64 v[58:59], v[42:43], v[8:9]
	v_add_f64 v[54:55], v[54:55], v[10:11]
	s_waitcnt lgkmcnt(0)
	s_barrier
	ds_read_b64 v[36:37], v105
	ds_read_b64 v[38:39], v106
	;; [unrolled: 1-line block ×5, first 2 shown]
	ds_read2_b64 v[8:11], v0 offset0:73 offset1:190
	v_add_u32_e32 v0, 0x1800, v108
	v_fma_f64 v[62:63], v[12:13], s[8:9], v[6:7]
	v_fma_f64 v[64:65], v[12:13], s[6:7], v[6:7]
	ds_read2_b64 v[12:15], v0 offset0:51 offset1:168
	v_add_u32_e32 v0, 0x2000, v108
	v_fma_f64 v[52:53], v[2:3], s[8:9], v[16:17]
	v_fma_f64 v[60:61], v[46:47], s[8:9], v[4:5]
	v_fma_f64 v[46:47], v[46:47], s[6:7], v[4:5]
	ds_read2_b64 v[4:7], v0 offset0:29 offset1:146
	v_add_u32_e32 v0, 0x2800, v108
	v_fma_f64 v[16:17], v[2:3], s[6:7], v[16:17]
	ds_read2_b64 v[0:3], v0 offset0:7 offset1:124
	s_waitcnt lgkmcnt(0)
	s_barrier
	ds_write2_b64 v19, v[50:51], v[48:49] offset1:39
	ds_write_b64 v19, v[56:57] offset:624
	ds_write2_b64 v20, v[44:45], v[52:53] offset1:39
	ds_write_b64 v20, v[16:17] offset:624
	;; [unrolled: 2-line block ×4, first 2 shown]
	s_and_saveexec_b64 s[6:7], s[0:1]
	s_cbranch_execz .LBB0_29
; %bb.28:
	v_add_f64 v[16:17], v[30:31], v[24:25]
	v_add_f64 v[19:20], v[34:35], v[30:31]
	v_add_f64 v[21:22], v[26:27], -v[28:29]
	s_mov_b32 s1, 0x3febb67a
	s_mov_b32 s0, 0xe8584caa
	v_fma_f64 v[16:17], v[16:17], -0.5, v[34:35]
	v_add_f64 v[19:20], v[19:20], v[24:25]
	v_fma_f64 v[23:24], v[21:22], s[0:1], v[16:17]
	s_mov_b32 s1, 0xbfebb67a
	v_fma_f64 v[16:17], v[21:22], s[0:1], v[16:17]
	v_add_u32_e32 v21, 0x2800, v18
	ds_write2_b64 v21, v[19:20], v[23:24] offset0:124 offset1:163
	ds_write_b64 v18, v[16:17] offset:11856
.LBB0_29:
	s_or_b64 exec, exec, s[6:7]
	s_waitcnt lgkmcnt(0)
	s_barrier
	s_and_saveexec_b64 s[0:1], vcc
	s_cbranch_execz .LBB0_31
; %bb.30:
	v_mul_u32_u24_e32 v16, 12, v100
	v_lshlrev_b32_e32 v34, 4, v16
	global_load_dwordx4 v[24:27], v34, s[12:13] offset:1744
	global_load_dwordx4 v[20:23], v34, s[12:13] offset:1760
	;; [unrolled: 1-line block ×12, first 2 shown]
	v_add_u32_e32 v48, 0x1000, v108
	v_add_u32_e32 v49, 0x1800, v108
	;; [unrolled: 1-line block ×4, first 2 shown]
	ds_read_b64 v[86:87], v109
	ds_read_b64 v[34:35], v108
	;; [unrolled: 1-line block ×5, first 2 shown]
	ds_read2_b64 v[60:63], v48 offset0:73 offset1:190
	ds_read2_b64 v[102:105], v49 offset0:51 offset1:168
	;; [unrolled: 1-line block ×4, first 2 shown]
	s_mov_b32 s16, 0x4bc48dbf
	s_mov_b32 s17, 0xbfcea1e5
	;; [unrolled: 1-line block ×32, first 2 shown]
	s_waitcnt vmcnt(11)
	v_mul_f64 v[48:49], v[10:11], v[24:25]
	s_waitcnt vmcnt(10)
	v_mul_f64 v[52:53], v[12:13], v[20:21]
	v_mul_f64 v[10:11], v[10:11], v[26:27]
	;; [unrolled: 1-line block ×3, first 2 shown]
	s_waitcnt vmcnt(9)
	v_mul_f64 v[84:85], v[8:9], v[28:29]
	v_mul_f64 v[8:9], v[8:9], v[30:31]
	s_waitcnt vmcnt(7)
	v_mul_f64 v[88:89], v[42:43], v[44:45]
	s_waitcnt vmcnt(4)
	;; [unrolled: 2-line block ×3, first 2 shown]
	v_mul_f64 v[124:125], v[38:39], v[76:77]
	v_mul_f64 v[96:97], v[4:5], v[54:55]
	s_waitcnt vmcnt(1)
	v_mul_f64 v[130:131], v[2:3], v[90:91]
	v_mul_f64 v[2:3], v[2:3], v[92:93]
	s_waitcnt vmcnt(0)
	v_mul_f64 v[114:115], v[36:37], v[98:99]
	v_mul_f64 v[135:136], v[36:37], v[100:101]
	;; [unrolled: 1-line block ×8, first 2 shown]
	s_waitcnt lgkmcnt(3)
	v_fma_f64 v[50:51], v[62:63], v[26:27], v[48:49]
	v_fma_f64 v[58:59], v[62:63], v[24:25], -v[10:11]
	v_fma_f64 v[62:63], v[60:61], v[30:31], v[84:85]
	v_fma_f64 v[84:85], v[60:61], v[28:29], -v[8:9]
	s_waitcnt lgkmcnt(2)
	v_fma_f64 v[48:49], v[102:103], v[22:23], v[52:53]
	v_fma_f64 v[52:53], v[102:103], v[20:21], -v[12:13]
	v_fma_f64 v[114:115], v[112:113], v[100:101], v[114:115]
	s_waitcnt lgkmcnt(0)
	v_fma_f64 v[28:29], v[118:119], v[92:93], v[130:131]
	v_fma_f64 v[102:103], v[94:95], v[74:75], v[110:111]
	;; [unrolled: 1-line block ×3, first 2 shown]
	v_fma_f64 v[124:125], v[112:113], v[98:99], -v[135:136]
	v_fma_f64 v[30:31], v[118:119], v[90:91], -v[2:3]
	v_mul_f64 v[126:127], v[6:7], v[64:65]
	v_mul_f64 v[6:7], v[6:7], v[66:67]
	v_fma_f64 v[38:39], v[106:107], v[56:57], v[96:97]
	v_fma_f64 v[96:97], v[86:87], v[44:45], -v[42:43]
	v_fma_f64 v[44:45], v[106:107], v[54:55], -v[4:5]
	v_fma_f64 v[36:37], v[116:117], v[82:83], v[128:129]
	v_fma_f64 v[112:113], v[94:95], v[72:73], -v[40:41]
	v_fma_f64 v[118:119], v[120:121], v[76:77], -v[133:134]
	;; [unrolled: 1-line block ×3, first 2 shown]
	v_add_f64 v[130:131], v[114:115], -v[28:29]
	v_add_f64 v[106:107], v[124:125], -v[30:31]
	v_fma_f64 v[88:89], v[86:87], v[46:47], v[88:89]
	v_fma_f64 v[42:43], v[108:109], v[66:67], v[126:127]
	v_fma_f64 v[46:47], v[108:109], v[64:65], -v[6:7]
	v_add_f64 v[128:129], v[110:111], -v[36:37]
	v_add_f64 v[100:101], v[124:125], v[30:31]
	v_add_f64 v[98:99], v[118:119], -v[40:41]
	v_add_f64 v[92:93], v[114:115], v[28:29]
	v_mul_f64 v[0:1], v[130:131], s[16:17]
	v_mul_f64 v[2:3], v[106:107], s[16:17]
	;; [unrolled: 1-line block ×4, first 2 shown]
	v_add_f64 v[90:91], v[118:119], v[40:41]
	v_add_f64 v[126:127], v[102:103], -v[42:43]
	v_add_f64 v[82:83], v[112:113], -v[46:47]
	v_add_f64 v[86:87], v[110:111], v[36:37]
	v_mul_f64 v[4:5], v[128:129], s[18:19]
	v_fma_f64 v[6:7], v[100:101], s[12:13], v[0:1]
	v_mul_f64 v[8:9], v[98:99], s[18:19]
	v_fma_f64 v[10:11], v[92:93], s[12:13], -v[2:3]
	v_fma_f64 v[54:55], v[104:105], v[18:19], v[122:123]
	v_fma_f64 v[56:57], v[104:105], v[16:17], -v[14:15]
	v_add_f64 v[122:123], v[88:89], -v[38:39]
	v_add_f64 v[72:73], v[112:113], v[46:47]
	v_add_f64 v[80:81], v[96:97], -v[44:45]
	v_add_f64 v[76:77], v[102:103], v[42:43]
	v_mul_f64 v[12:13], v[126:127], s[8:9]
	v_fma_f64 v[14:15], v[90:91], s[14:15], v[4:5]
	v_add_f64 v[6:7], v[34:35], v[6:7]
	v_mul_f64 v[16:17], v[82:83], s[8:9]
	v_fma_f64 v[18:19], v[86:87], s[14:15], -v[8:9]
	v_add_f64 v[10:11], v[32:33], v[10:11]
	v_add_f64 v[60:61], v[96:97], v[44:45]
	;; [unrolled: 1-line block ×3, first 2 shown]
	v_add_f64 v[94:95], v[84:85], -v[56:57]
	v_mul_f64 v[20:21], v[122:123], s[26:27]
	v_fma_f64 v[22:23], v[72:73], s[0:1], v[12:13]
	v_add_f64 v[6:7], v[14:15], v[6:7]
	v_mul_f64 v[14:15], v[80:81], s[26:27]
	v_fma_f64 v[24:25], v[76:77], s[0:1], -v[16:17]
	v_add_f64 v[10:11], v[18:19], v[10:11]
	v_add_f64 v[120:121], v[62:63], -v[54:55]
	v_add_f64 v[74:75], v[62:63], v[54:55]
	v_fma_f64 v[26:27], v[60:61], s[6:7], v[20:21]
	v_add_f64 v[66:67], v[84:85], v[56:57]
	v_add_f64 v[6:7], v[22:23], v[6:7]
	v_mul_f64 v[22:23], v[94:95], s[20:21]
	v_fma_f64 v[133:134], v[64:65], s[6:7], -v[14:15]
	v_add_f64 v[10:11], v[24:25], v[10:11]
	v_add_f64 v[108:109], v[50:51], -v[48:49]
	v_mul_f64 v[18:19], v[120:121], s[20:21]
	v_add_f64 v[116:117], v[58:59], -v[52:53]
	v_fma_f64 v[0:1], v[100:101], s[12:13], -v[0:1]
	v_add_f64 v[6:7], v[26:27], v[6:7]
	v_fma_f64 v[26:27], v[74:75], s[22:23], -v[22:23]
	v_fma_f64 v[2:3], v[92:93], s[12:13], v[2:3]
	v_add_f64 v[10:11], v[133:134], v[10:11]
	v_add_f64 v[78:79], v[58:59], v[52:53]
	;; [unrolled: 1-line block ×3, first 2 shown]
	v_fma_f64 v[24:25], v[66:67], s[22:23], v[18:19]
	v_mul_f64 v[133:134], v[108:109], s[30:31]
	v_mul_f64 v[135:136], v[116:117], s[30:31]
	v_fma_f64 v[4:5], v[90:91], s[14:15], -v[4:5]
	v_add_f64 v[0:1], v[34:35], v[0:1]
	v_fma_f64 v[8:9], v[86:87], s[14:15], v[8:9]
	v_add_f64 v[2:3], v[32:33], v[2:3]
	v_add_f64 v[10:11], v[26:27], v[10:11]
	v_mul_f64 v[26:27], v[130:131], s[8:9]
	v_add_f64 v[6:7], v[24:25], v[6:7]
	v_fma_f64 v[24:25], v[78:79], s[24:25], v[133:134]
	v_fma_f64 v[137:138], v[104:105], s[24:25], -v[135:136]
	v_add_f64 v[4:5], v[4:5], v[0:1]
	v_fma_f64 v[12:13], v[72:73], s[0:1], -v[12:13]
	v_add_f64 v[8:9], v[8:9], v[2:3]
	v_fma_f64 v[16:17], v[76:77], s[0:1], v[16:17]
	v_fma_f64 v[139:140], v[100:101], s[0:1], v[26:27]
	v_mul_f64 v[141:142], v[128:129], s[30:31]
	v_add_f64 v[2:3], v[24:25], v[6:7]
	v_add_f64 v[0:1], v[137:138], v[10:11]
	v_fma_f64 v[10:11], v[64:65], s[6:7], v[14:15]
	v_add_f64 v[4:5], v[12:13], v[4:5]
	v_mul_f64 v[24:25], v[122:123], s[38:39]
	v_add_f64 v[6:7], v[16:17], v[8:9]
	v_fma_f64 v[8:9], v[60:61], s[6:7], -v[20:21]
	v_add_f64 v[12:13], v[34:35], v[139:140]
	v_fma_f64 v[14:15], v[90:91], s[24:25], v[141:142]
	v_mul_f64 v[16:17], v[106:107], s[8:9]
	v_mul_f64 v[20:21], v[126:127], s[28:29]
	v_fma_f64 v[133:134], v[78:79], s[24:25], -v[133:134]
	v_fma_f64 v[26:27], v[100:101], s[0:1], -v[26:27]
	v_add_f64 v[6:7], v[10:11], v[6:7]
	v_add_f64 v[4:5], v[8:9], v[4:5]
	v_fma_f64 v[8:9], v[66:67], s[22:23], -v[18:19]
	v_fma_f64 v[10:11], v[74:75], s[22:23], v[22:23]
	v_add_f64 v[12:13], v[14:15], v[12:13]
	v_fma_f64 v[14:15], v[92:93], s[0:1], -v[16:17]
	v_mul_f64 v[18:19], v[98:99], s[30:31]
	v_fma_f64 v[22:23], v[72:73], s[6:7], v[20:21]
	v_fma_f64 v[16:17], v[92:93], s[0:1], v[16:17]
	v_mul_f64 v[137:138], v[120:121], s[18:19]
	v_add_f64 v[4:5], v[8:9], v[4:5]
	v_add_f64 v[8:9], v[10:11], v[6:7]
	v_mul_f64 v[143:144], v[80:81], s[38:39]
	v_add_f64 v[6:7], v[32:33], v[14:15]
	v_fma_f64 v[10:11], v[86:87], s[24:25], -v[18:19]
	v_add_f64 v[12:13], v[22:23], v[12:13]
	v_fma_f64 v[22:23], v[60:61], s[12:13], v[24:25]
	v_mul_f64 v[14:15], v[82:83], s[28:29]
	v_fma_f64 v[18:19], v[86:87], s[24:25], v[18:19]
	v_add_f64 v[16:17], v[32:33], v[16:17]
	v_fma_f64 v[20:21], v[72:73], s[6:7], -v[20:21]
	v_fma_f64 v[135:136], v[104:105], s[24:25], v[135:136]
	v_add_f64 v[10:11], v[10:11], v[6:7]
	v_add_f64 v[6:7], v[133:134], v[4:5]
	;; [unrolled: 1-line block ×3, first 2 shown]
	v_fma_f64 v[12:13], v[90:91], s[24:25], -v[141:142]
	v_add_f64 v[22:23], v[34:35], v[26:27]
	v_fma_f64 v[139:140], v[76:77], s[6:7], -v[14:15]
	v_fma_f64 v[26:27], v[66:67], s[14:15], v[137:138]
	v_fma_f64 v[133:134], v[64:65], s[12:13], -v[143:144]
	v_mul_f64 v[141:142], v[108:109], s[20:21]
	v_add_f64 v[16:17], v[18:19], v[16:17]
	v_fma_f64 v[14:15], v[76:77], s[6:7], v[14:15]
	v_fma_f64 v[18:19], v[60:61], s[12:13], -v[24:25]
	v_add_f64 v[12:13], v[12:13], v[22:23]
	v_add_f64 v[10:11], v[139:140], v[10:11]
	v_mul_f64 v[139:140], v[94:95], s[18:19]
	v_add_f64 v[22:23], v[26:27], v[4:5]
	v_mul_f64 v[145:146], v[116:117], s[20:21]
	v_add_f64 v[4:5], v[135:136], v[8:9]
	v_add_f64 v[14:15], v[14:15], v[16:17]
	v_fma_f64 v[16:17], v[64:65], s[12:13], v[143:144]
	v_add_f64 v[12:13], v[20:21], v[12:13]
	v_add_f64 v[10:11], v[133:134], v[10:11]
	v_fma_f64 v[26:27], v[74:75], s[14:15], -v[139:140]
	v_fma_f64 v[133:134], v[78:79], s[22:23], v[141:142]
	v_mul_f64 v[20:21], v[130:131], s[20:21]
	v_fma_f64 v[141:142], v[78:79], s[22:23], -v[141:142]
	v_mul_f64 v[143:144], v[122:123], s[34:35]
	v_add_f64 v[14:15], v[16:17], v[14:15]
	v_add_f64 v[12:13], v[18:19], v[12:13]
	v_mul_f64 v[18:19], v[106:107], s[20:21]
	v_add_f64 v[8:9], v[26:27], v[10:11]
	v_add_f64 v[10:11], v[133:134], v[22:23]
	v_fma_f64 v[22:23], v[104:105], s[22:23], -v[145:146]
	v_fma_f64 v[24:25], v[100:101], s[22:23], v[20:21]
	v_mul_f64 v[26:27], v[128:129], s[36:37]
	v_fma_f64 v[133:134], v[66:67], s[14:15], -v[137:138]
	v_fma_f64 v[16:17], v[74:75], s[14:15], v[139:140]
	v_fma_f64 v[135:136], v[92:93], s[22:23], -v[18:19]
	v_mul_f64 v[137:138], v[98:99], s[36:37]
	v_mul_f64 v[139:140], v[126:127], s[18:19]
	v_add_f64 v[8:9], v[22:23], v[8:9]
	v_add_f64 v[22:23], v[34:35], v[24:25]
	v_fma_f64 v[24:25], v[90:91], s[0:1], v[26:27]
	v_add_f64 v[12:13], v[133:134], v[12:13]
	v_add_f64 v[16:17], v[16:17], v[14:15]
	;; [unrolled: 1-line block ×3, first 2 shown]
	v_fma_f64 v[133:134], v[86:87], s[0:1], -v[137:138]
	v_mul_f64 v[135:136], v[82:83], s[18:19]
	v_mul_f64 v[149:150], v[80:81], s[34:35]
	v_fma_f64 v[145:146], v[104:105], s[22:23], v[145:146]
	v_add_f64 v[22:23], v[24:25], v[22:23]
	v_fma_f64 v[24:25], v[72:73], s[14:15], v[139:140]
	v_fma_f64 v[20:21], v[100:101], s[22:23], -v[20:21]
	v_fma_f64 v[18:19], v[92:93], s[22:23], v[18:19]
	v_add_f64 v[133:134], v[133:134], v[14:15]
	v_fma_f64 v[147:148], v[76:77], s[14:15], -v[135:136]
	v_add_f64 v[14:15], v[141:142], v[12:13]
	v_mul_f64 v[141:142], v[120:121], s[38:39]
	v_add_f64 v[12:13], v[145:146], v[16:17]
	v_add_f64 v[22:23], v[24:25], v[22:23]
	v_fma_f64 v[24:25], v[60:61], s[24:25], v[143:144]
	v_mul_f64 v[145:146], v[94:95], s[38:39]
	v_fma_f64 v[16:17], v[90:91], s[0:1], -v[26:27]
	v_add_f64 v[133:134], v[147:148], v[133:134]
	v_fma_f64 v[147:148], v[64:65], s[24:25], -v[149:150]
	v_add_f64 v[20:21], v[34:35], v[20:21]
	v_mul_f64 v[151:152], v[116:117], s[26:27]
	v_fma_f64 v[137:138], v[86:87], s[0:1], v[137:138]
	v_add_f64 v[22:23], v[24:25], v[22:23]
	v_fma_f64 v[24:25], v[66:67], s[12:13], v[141:142]
	v_add_f64 v[18:19], v[32:33], v[18:19]
	v_fma_f64 v[143:144], v[60:61], s[24:25], -v[143:144]
	v_add_f64 v[26:27], v[147:148], v[133:134]
	v_mul_f64 v[133:134], v[108:109], s[26:27]
	v_fma_f64 v[147:148], v[74:75], s[12:13], -v[145:146]
	v_add_f64 v[16:17], v[16:17], v[20:21]
	v_fma_f64 v[20:21], v[72:73], s[14:15], -v[139:140]
	v_add_f64 v[22:23], v[24:25], v[22:23]
	v_mul_f64 v[139:140], v[130:131], s[34:35]
	v_add_f64 v[137:138], v[137:138], v[18:19]
	v_fma_f64 v[135:136], v[76:77], s[14:15], v[135:136]
	v_fma_f64 v[24:25], v[78:79], s[6:7], v[133:134]
	v_add_f64 v[26:27], v[147:148], v[26:27]
	v_fma_f64 v[147:148], v[104:105], s[6:7], -v[151:152]
	v_add_f64 v[20:21], v[20:21], v[16:17]
	v_mul_f64 v[153:154], v[106:107], s[34:35]
	s_mov_b32 s27, 0x3fedeba7
	s_mov_b32 s26, s20
	v_add_f64 v[135:136], v[135:136], v[137:138]
	v_add_f64 v[18:19], v[24:25], v[22:23]
	v_fma_f64 v[22:23], v[100:101], s[24:25], v[139:140]
	v_mul_f64 v[24:25], v[128:129], s[16:17]
	v_add_f64 v[16:17], v[147:148], v[26:27]
	v_add_f64 v[20:21], v[143:144], v[20:21]
	v_fma_f64 v[26:27], v[66:67], s[12:13], -v[141:142]
	v_fma_f64 v[137:138], v[64:65], s[24:25], v[149:150]
	v_fma_f64 v[143:144], v[92:93], s[24:25], -v[153:154]
	v_mul_f64 v[147:148], v[98:99], s[16:17]
	v_add_f64 v[22:23], v[34:35], v[22:23]
	v_fma_f64 v[141:142], v[90:91], s[12:13], v[24:25]
	v_mul_f64 v[149:150], v[126:127], s[26:27]
	v_mul_f64 v[155:156], v[122:123], s[18:19]
	v_add_f64 v[20:21], v[26:27], v[20:21]
	v_add_f64 v[26:27], v[137:138], v[135:136]
	v_fma_f64 v[135:136], v[74:75], s[12:13], v[145:146]
	v_add_f64 v[137:138], v[32:33], v[143:144]
	v_fma_f64 v[143:144], v[86:87], s[12:13], -v[147:148]
	v_mul_f64 v[145:146], v[82:83], s[26:27]
	v_add_f64 v[22:23], v[141:142], v[22:23]
	v_fma_f64 v[141:142], v[72:73], s[22:23], v[149:150]
	v_fma_f64 v[133:134], v[78:79], s[6:7], -v[133:134]
	v_mul_f64 v[157:158], v[80:81], s[18:19]
	v_add_f64 v[135:136], v[135:136], v[26:27]
	v_fma_f64 v[151:152], v[104:105], s[6:7], v[151:152]
	v_add_f64 v[137:138], v[143:144], v[137:138]
	v_fma_f64 v[143:144], v[76:77], s[22:23], -v[145:146]
	v_fma_f64 v[147:148], v[86:87], s[12:13], v[147:148]
	v_add_f64 v[22:23], v[141:142], v[22:23]
	v_fma_f64 v[141:142], v[60:61], s[14:15], v[155:156]
	v_add_f64 v[26:27], v[133:134], v[20:21]
	v_fma_f64 v[20:21], v[100:101], s[24:25], -v[139:140]
	v_fma_f64 v[139:140], v[92:93], s[24:25], v[153:154]
	v_mul_f64 v[133:134], v[120:121], s[28:29]
	v_add_f64 v[137:138], v[143:144], v[137:138]
	v_fma_f64 v[143:144], v[64:65], s[14:15], -v[157:158]
	v_mul_f64 v[153:154], v[94:95], s[28:29]
	v_add_f64 v[22:23], v[141:142], v[22:23]
	v_fma_f64 v[141:142], v[90:91], s[12:13], -v[24:25]
	v_add_f64 v[20:21], v[34:35], v[20:21]
	v_add_f64 v[139:140], v[32:33], v[139:140]
	v_fma_f64 v[159:160], v[66:67], s[6:7], v[133:134]
	v_mul_f64 v[161:162], v[108:109], s[8:9]
	v_add_f64 v[137:138], v[143:144], v[137:138]
	v_fma_f64 v[143:144], v[74:75], s[6:7], -v[153:154]
	v_add_f64 v[24:25], v[151:152], v[135:136]
	v_fma_f64 v[135:136], v[72:73], s[22:23], -v[149:150]
	v_add_f64 v[20:21], v[141:142], v[20:21]
	v_add_f64 v[139:140], v[147:148], v[139:140]
	v_fma_f64 v[141:142], v[76:77], s[22:23], v[145:146]
	v_add_f64 v[22:23], v[159:160], v[22:23]
	v_mul_f64 v[145:146], v[116:117], s[8:9]
	v_add_f64 v[137:138], v[143:144], v[137:138]
	v_fma_f64 v[143:144], v[78:79], s[0:1], v[161:162]
	v_mul_f64 v[149:150], v[106:107], s[28:29]
	v_add_f64 v[20:21], v[135:136], v[20:21]
	v_fma_f64 v[135:136], v[60:61], s[14:15], -v[155:156]
	v_add_f64 v[139:140], v[141:142], v[139:140]
	v_fma_f64 v[141:142], v[64:65], s[14:15], v[157:158]
	v_mul_f64 v[147:148], v[130:131], s[28:29]
	v_fma_f64 v[133:134], v[66:67], s[6:7], -v[133:134]
	v_add_f64 v[22:23], v[143:144], v[22:23]
	v_fma_f64 v[143:144], v[104:105], s[0:1], -v[145:146]
	v_mul_f64 v[157:158], v[98:99], s[20:21]
	v_add_f64 v[135:136], v[135:136], v[20:21]
	v_mul_f64 v[155:156], v[128:129], s[20:21]
	v_add_f64 v[139:140], v[141:142], v[139:140]
	v_fma_f64 v[141:142], v[92:93], s[6:7], -v[149:150]
	v_fma_f64 v[151:152], v[100:101], s[6:7], v[147:148]
	v_fma_f64 v[153:154], v[74:75], s[6:7], v[153:154]
	v_add_f64 v[20:21], v[143:144], v[137:138]
	v_fma_f64 v[137:138], v[86:87], s[22:23], -v[157:158]
	v_add_f64 v[133:134], v[133:134], v[135:136]
	v_fma_f64 v[159:160], v[90:91], s[22:23], v[155:156]
	v_mul_f64 v[163:164], v[126:127], s[16:17]
	v_add_f64 v[135:136], v[32:33], v[141:142]
	v_add_f64 v[151:152], v[34:35], v[151:152]
	v_mul_f64 v[141:142], v[82:83], s[16:17]
	v_fma_f64 v[155:156], v[90:91], s[22:23], -v[155:156]
	v_add_f64 v[139:140], v[153:154], v[139:140]
	v_mul_f64 v[153:154], v[122:123], s[36:37]
	v_mul_f64 v[165:166], v[120:121], s[30:31]
	v_add_f64 v[124:125], v[34:35], v[124:125]
	v_add_f64 v[135:136], v[137:138], v[135:136]
	v_fma_f64 v[137:138], v[100:101], s[6:7], -v[147:148]
	v_add_f64 v[143:144], v[159:160], v[151:152]
	v_fma_f64 v[159:160], v[78:79], s[0:1], -v[161:162]
	v_fma_f64 v[147:148], v[76:77], s[12:13], -v[141:142]
	v_fma_f64 v[151:152], v[72:73], s[12:13], v[163:164]
	v_fma_f64 v[149:150], v[92:93], s[6:7], v[149:150]
	v_add_f64 v[118:119], v[118:119], v[124:125]
	v_fma_f64 v[157:158], v[86:87], s[22:23], v[157:158]
	v_add_f64 v[137:138], v[34:35], v[137:138]
	v_mul_f64 v[161:162], v[80:81], s[36:37]
	v_fma_f64 v[145:146], v[104:105], s[0:1], v[145:146]
	v_add_f64 v[147:148], v[147:148], v[135:136]
	v_add_f64 v[135:136], v[159:160], v[133:134]
	;; [unrolled: 1-line block ×3, first 2 shown]
	v_fma_f64 v[151:152], v[60:61], s[0:1], v[153:154]
	v_fma_f64 v[153:154], v[60:61], s[0:1], -v[153:154]
	v_add_f64 v[133:134], v[155:156], v[137:138]
	v_fma_f64 v[137:138], v[72:73], s[12:13], -v[163:164]
	v_add_f64 v[118:119], v[112:113], v[118:119]
	v_add_f64 v[149:150], v[32:33], v[149:150]
	v_mul_f64 v[159:160], v[116:117], s[18:19]
	v_fma_f64 v[167:168], v[64:65], s[0:1], -v[161:162]
	v_mul_f64 v[169:170], v[94:95], s[30:31]
	v_add_f64 v[143:144], v[151:152], v[143:144]
	v_fma_f64 v[151:152], v[66:67], s[24:25], v[165:166]
	v_add_f64 v[137:138], v[137:138], v[133:134]
	v_add_f64 v[96:97], v[96:97], v[118:119]
	;; [unrolled: 1-line block ×3, first 2 shown]
	v_mul_f64 v[157:158], v[108:109], s[18:19]
	s_mov_b32 s19, 0xbfddbe06
	v_fma_f64 v[141:142], v[76:77], s[12:13], v[141:142]
	v_mul_f64 v[130:131], v[130:131], s[18:19]
	v_mul_f64 v[106:107], v[106:107], s[18:19]
	v_add_f64 v[137:138], v[153:154], v[137:138]
	v_fma_f64 v[153:154], v[66:67], s[24:25], -v[165:166]
	v_add_f64 v[84:85], v[84:85], v[96:97]
	v_add_f64 v[147:148], v[167:168], v[147:148]
	v_fma_f64 v[155:156], v[74:75], s[24:25], -v[169:170]
	v_add_f64 v[133:134], v[145:146], v[139:140]
	v_add_f64 v[139:140], v[141:142], v[149:150]
	;; [unrolled: 1-line block ×3, first 2 shown]
	v_fma_f64 v[145:146], v[78:79], s[14:15], v[157:158]
	v_add_f64 v[137:138], v[153:154], v[137:138]
	v_add_f64 v[153:154], v[32:33], v[114:115]
	v_fma_f64 v[149:150], v[100:101], s[14:15], v[130:131]
	v_mul_f64 v[151:152], v[128:129], s[28:29]
	v_fma_f64 v[100:101], v[100:101], s[14:15], -v[130:131]
	v_mul_f64 v[96:97], v[98:99], s[28:29]
	v_fma_f64 v[98:99], v[92:93], s[14:15], -v[106:107]
	v_add_f64 v[58:59], v[58:59], v[84:85]
	v_fma_f64 v[141:142], v[64:65], s[0:1], v[161:162]
	v_add_f64 v[110:111], v[110:111], v[153:154]
	v_add_f64 v[147:148], v[155:156], v[147:148]
	;; [unrolled: 1-line block ×4, first 2 shown]
	v_fma_f64 v[149:150], v[90:91], s[6:7], v[151:152]
	v_mul_f64 v[155:156], v[126:127], s[34:35]
	v_fma_f64 v[90:91], v[90:91], s[6:7], -v[151:152]
	v_fma_f64 v[84:85], v[86:87], s[6:7], -v[96:97]
	v_add_f64 v[102:103], v[102:103], v[110:111]
	v_add_f64 v[100:101], v[34:35], v[100:101]
	v_add_f64 v[52:53], v[52:53], v[58:59]
	v_add_f64 v[139:140], v[141:142], v[139:140]
	v_fma_f64 v[141:142], v[74:75], s[24:25], v[169:170]
	v_fma_f64 v[86:87], v[86:87], s[6:7], v[96:97]
	v_add_f64 v[145:146], v[149:150], v[145:146]
	v_fma_f64 v[149:150], v[72:73], s[24:25], v[155:156]
	v_add_f64 v[88:89], v[88:89], v[102:103]
	v_mul_f64 v[122:123], v[122:123], s[20:21]
	v_fma_f64 v[72:73], v[72:73], s[24:25], -v[155:156]
	v_add_f64 v[52:53], v[56:57], v[52:53]
	v_add_f64 v[139:140], v[141:142], v[139:140]
	v_fma_f64 v[141:142], v[78:79], s[14:15], -v[157:158]
	v_mul_f64 v[80:81], v[80:81], s[20:21]
	v_mul_f64 v[120:121], v[120:121], s[8:9]
	v_add_f64 v[62:63], v[62:63], v[88:89]
	v_fma_f64 v[88:89], v[92:93], s[14:15], v[106:107]
	v_add_f64 v[92:93], v[32:33], v[98:99]
	v_add_f64 v[44:45], v[44:45], v[52:53]
	v_mul_f64 v[102:103], v[108:109], s[16:17]
	v_add_f64 v[114:115], v[141:142], v[137:138]
	v_fma_f64 v[137:138], v[60:61], s[22:23], v[122:123]
	v_fma_f64 v[56:57], v[64:65], s[22:23], -v[80:81]
	v_add_f64 v[50:51], v[50:51], v[62:63]
	v_mul_f64 v[62:63], v[82:83], s[34:35]
	v_add_f64 v[32:33], v[32:33], v[88:89]
	v_add_f64 v[58:59], v[84:85], v[92:93]
	;; [unrolled: 1-line block ×3, first 2 shown]
	v_mul_f64 v[84:85], v[94:95], s[8:9]
	v_add_f64 v[44:45], v[46:47], v[44:45]
	v_fma_f64 v[124:125], v[104:105], s[14:15], v[159:160]
	v_add_f64 v[48:49], v[48:49], v[50:51]
	v_fma_f64 v[50:51], v[76:77], s[24:25], -v[62:63]
	v_fma_f64 v[62:63], v[76:77], s[24:25], v[62:63]
	v_add_f64 v[32:33], v[86:87], v[32:33]
	v_mul_f64 v[82:83], v[116:117], s[16:17]
	v_fma_f64 v[52:53], v[74:75], s[0:1], -v[84:85]
	v_add_f64 v[40:41], v[40:41], v[44:45]
	v_fma_f64 v[118:119], v[66:67], s[0:1], v[120:121]
	v_add_f64 v[48:49], v[54:55], v[48:49]
	v_add_f64 v[50:51], v[50:51], v[58:59]
	v_fma_f64 v[54:55], v[60:61], s[22:23], -v[122:123]
	v_add_f64 v[58:59], v[72:73], v[88:89]
	v_fma_f64 v[60:61], v[64:65], s[22:23], v[80:81]
	v_add_f64 v[32:33], v[62:63], v[32:33]
	v_add_f64 v[112:113], v[124:125], v[139:140]
	v_mul_lo_u32 v139, s5, v70
	v_add_f64 v[38:39], v[38:39], v[48:49]
	v_fma_f64 v[48:49], v[66:67], s[0:1], -v[120:121]
	v_add_f64 v[50:51], v[56:57], v[50:51]
	v_add_f64 v[54:55], v[54:55], v[58:59]
	v_fma_f64 v[56:57], v[74:75], s[0:1], v[84:85]
	v_add_f64 v[32:33], v[60:61], v[32:33]
	v_mad_u64_u32 v[44:45], s[0:1], s2, v132, 0
	v_add_f64 v[38:39], v[42:43], v[38:39]
	v_fma_f64 v[42:43], v[78:79], s[12:13], -v[102:103]
	v_mul_lo_u32 v140, s4, v71
	v_add_f64 v[48:49], v[48:49], v[54:55]
	v_mad_u64_u32 v[70:71], s[4:5], s4, v70, 0
	v_fma_f64 v[46:47], v[104:105], s[12:13], -v[82:83]
	v_add_f64 v[50:51], v[52:53], v[50:51]
	v_add_f64 v[54:55], v[56:57], v[32:33]
	;; [unrolled: 1-line block ×3, first 2 shown]
	v_mov_b32_e32 v36, v45
	v_add_f64 v[38:39], v[42:43], v[48:49]
	v_mad_u64_u32 v[42:43], s[0:1], s3, v132, v[36:37]
	v_add3_u32 v71, v71, v140, v139
	v_add_f64 v[30:31], v[30:31], v[40:41]
	v_lshlrev_b64 v[40:41], 4, v[70:71]
	v_mov_b32_e32 v45, v42
	v_mov_b32_e32 v42, s11
	v_add_co_u32_e32 v43, vcc, s10, v40
	v_addc_co_u32_e32 v42, vcc, v42, v41, vcc
	v_lshlrev_b64 v[40:41], 4, v[68:69]
	v_fma_f64 v[52:53], v[104:105], s[12:13], v[82:83]
	v_add_f64 v[32:33], v[46:47], v[50:51]
	v_add_co_u32_e32 v46, vcc, v43, v40
	v_addc_co_u32_e32 v47, vcc, v42, v41, vcc
	v_lshlrev_b64 v[40:41], 4, v[44:45]
	v_add_u32_e32 v44, 0x75, v132
	v_mad_u64_u32 v[42:43], s[0:1], s2, v44, 0
	v_add_f64 v[28:29], v[28:29], v[56:57]
	v_add_u32_e32 v48, 0xea, v132
	v_mad_u64_u32 v[43:44], s[0:1], s3, v44, v[43:44]
	v_add_f64 v[36:37], v[52:53], v[54:55]
	v_mad_u64_u32 v[44:45], s[0:1], s2, v48, 0
	v_add_co_u32_e32 v40, vcc, v46, v40
	v_addc_co_u32_e32 v41, vcc, v47, v41, vcc
	global_store_dwordx4 v[40:41], v[28:31], off
	v_add_f64 v[124:125], v[149:150], v[145:146]
	v_lshlrev_b64 v[28:29], 4, v[42:43]
	v_mov_b32_e32 v30, v45
	v_mad_u64_u32 v[30:31], s[0:1], s3, v48, v[30:31]
	v_add_co_u32_e32 v28, vcc, v46, v28
	v_addc_co_u32_e32 v29, vcc, v47, v29, vcc
	global_store_dwordx4 v[28:29], v[36:39], off
	v_mov_b32_e32 v45, v30
	v_add_u32_e32 v36, 0x15f, v132
	v_mad_u64_u32 v[30:31], s[0:1], s2, v36, 0
	v_add_u32_e32 v39, 0x1d4, v132
	v_lshlrev_b64 v[28:29], 4, v[44:45]
	v_mad_u64_u32 v[36:37], s[0:1], s3, v36, v[31:32]
	v_mad_u64_u32 v[37:38], s[0:1], s2, v39, 0
	v_add_co_u32_e32 v28, vcc, v46, v28
	v_addc_co_u32_e32 v29, vcc, v47, v29, vcc
	v_mov_b32_e32 v31, v36
	global_store_dwordx4 v[28:29], v[112:115], off
	v_lshlrev_b64 v[28:29], 4, v[30:31]
	v_mov_b32_e32 v30, v38
	v_mad_u64_u32 v[30:31], s[0:1], s3, v39, v[30:31]
	v_add_u32_e32 v36, 0x249, v132
	v_add_co_u32_e32 v28, vcc, v46, v28
	v_mov_b32_e32 v38, v30
	v_mad_u64_u32 v[30:31], s[0:1], s2, v36, 0
	v_addc_co_u32_e32 v29, vcc, v47, v29, vcc
	global_store_dwordx4 v[28:29], v[133:136], off
	v_lshlrev_b64 v[28:29], 4, v[37:38]
	v_mad_u64_u32 v[36:37], s[0:1], s3, v36, v[31:32]
	v_add_co_u32_e32 v28, vcc, v46, v28
	v_addc_co_u32_e32 v29, vcc, v47, v29, vcc
	v_add_u32_e32 v39, 0x2be, v132
	v_mov_b32_e32 v31, v36
	v_mad_u64_u32 v[37:38], s[0:1], s2, v39, 0
	global_store_dwordx4 v[28:29], v[24:27], off
	v_add_f64 v[110:111], v[137:138], v[124:125]
	v_lshlrev_b64 v[24:25], 4, v[30:31]
	v_mov_b32_e32 v26, v38
	v_add_co_u32_e32 v24, vcc, v46, v24
	v_addc_co_u32_e32 v25, vcc, v47, v25, vcc
	global_store_dwordx4 v[24:25], v[12:15], off
	v_add_u32_e32 v24, 0x333, v132
	v_mad_u64_u32 v[26:27], s[0:1], s3, v39, v[26:27]
	v_mad_u64_u32 v[14:15], s[0:1], s2, v24, 0
	v_mov_b32_e32 v38, v26
	v_lshlrev_b64 v[12:13], 4, v[37:38]
	v_mad_u64_u32 v[24:25], s[0:1], s3, v24, v[15:16]
	v_add_co_u32_e32 v12, vcc, v46, v12
	v_addc_co_u32_e32 v13, vcc, v47, v13, vcc
	v_add_u32_e32 v27, 0x3a8, v132
	v_mov_b32_e32 v15, v24
	v_mad_u64_u32 v[25:26], s[0:1], s2, v27, 0
	global_store_dwordx4 v[12:13], v[4:7], off
	v_fma_f64 v[143:144], v[104:105], s[14:15], -v[159:160]
	v_lshlrev_b64 v[4:5], 4, v[14:15]
	v_mov_b32_e32 v6, v26
	v_add_co_u32_e32 v4, vcc, v46, v4
	v_addc_co_u32_e32 v5, vcc, v47, v5, vcc
	global_store_dwordx4 v[4:5], v[0:3], off
	v_add_u32_e32 v4, 0x41d, v132
	v_mad_u64_u32 v[6:7], s[0:1], s3, v27, v[6:7]
	v_mad_u64_u32 v[2:3], s[0:1], s2, v4, 0
	v_mov_b32_e32 v26, v6
	v_add_u32_e32 v6, 0x492, v132
	v_mad_u64_u32 v[3:4], s[0:1], s3, v4, v[3:4]
	v_lshlrev_b64 v[0:1], 4, v[25:26]
	v_mad_u64_u32 v[4:5], s[0:1], s2, v6, 0
	v_add_co_u32_e32 v0, vcc, v46, v0
	v_addc_co_u32_e32 v1, vcc, v47, v1, vcc
	global_store_dwordx4 v[0:1], v[8:11], off
	v_lshlrev_b64 v[0:1], 4, v[2:3]
	v_mov_b32_e32 v2, v5
	v_mad_u64_u32 v[2:3], s[0:1], s3, v6, v[2:3]
	v_add_co_u32_e32 v0, vcc, v46, v0
	v_addc_co_u32_e32 v1, vcc, v47, v1, vcc
	v_mov_b32_e32 v5, v2
	global_store_dwordx4 v[0:1], v[16:19], off
	v_lshlrev_b64 v[0:1], 4, v[4:5]
	v_add_u32_e32 v4, 0x507, v132
	v_mad_u64_u32 v[2:3], s[0:1], s2, v4, 0
	v_add_f64 v[108:109], v[118:119], v[110:111]
	v_fma_f64 v[98:99], v[78:79], s[12:13], v[102:103]
	v_mad_u64_u32 v[3:4], s[0:1], s3, v4, v[3:4]
	v_add_u32_e32 v6, 0x57c, v132
	v_mad_u64_u32 v[4:5], s[0:1], s2, v6, 0
	v_add_f64 v[126:127], v[143:144], v[147:148]
	v_add_co_u32_e32 v0, vcc, v46, v0
	v_addc_co_u32_e32 v1, vcc, v47, v1, vcc
	global_store_dwordx4 v[0:1], v[20:23], off
	v_lshlrev_b64 v[0:1], 4, v[2:3]
	v_mov_b32_e32 v2, v5
	v_mad_u64_u32 v[2:3], s[0:1], s3, v6, v[2:3]
	v_add_f64 v[34:35], v[98:99], v[108:109]
	v_add_co_u32_e32 v0, vcc, v46, v0
	v_addc_co_u32_e32 v1, vcc, v47, v1, vcc
	v_mov_b32_e32 v5, v2
	global_store_dwordx4 v[0:1], v[126:129], off
	v_lshlrev_b64 v[0:1], 4, v[4:5]
	v_add_co_u32_e32 v0, vcc, v46, v0
	v_addc_co_u32_e32 v1, vcc, v47, v1, vcc
	global_store_dwordx4 v[0:1], v[32:35], off
.LBB0_31:
	s_endpgm
	.section	.rodata,"a",@progbits
	.p2align	6, 0x0
	.amdhsa_kernel fft_rtc_back_len1521_factors_13_3_3_13_wgs_117_tpt_117_halfLds_dp_op_CI_CI_sbrr_dirReg
		.amdhsa_group_segment_fixed_size 0
		.amdhsa_private_segment_fixed_size 0
		.amdhsa_kernarg_size 104
		.amdhsa_user_sgpr_count 6
		.amdhsa_user_sgpr_private_segment_buffer 1
		.amdhsa_user_sgpr_dispatch_ptr 0
		.amdhsa_user_sgpr_queue_ptr 0
		.amdhsa_user_sgpr_kernarg_segment_ptr 1
		.amdhsa_user_sgpr_dispatch_id 0
		.amdhsa_user_sgpr_flat_scratch_init 0
		.amdhsa_user_sgpr_private_segment_size 0
		.amdhsa_uses_dynamic_stack 0
		.amdhsa_system_sgpr_private_segment_wavefront_offset 0
		.amdhsa_system_sgpr_workgroup_id_x 1
		.amdhsa_system_sgpr_workgroup_id_y 0
		.amdhsa_system_sgpr_workgroup_id_z 0
		.amdhsa_system_sgpr_workgroup_info 0
		.amdhsa_system_vgpr_workitem_id 0
		.amdhsa_next_free_vgpr 171
		.amdhsa_next_free_sgpr 50
		.amdhsa_reserve_vcc 1
		.amdhsa_reserve_flat_scratch 0
		.amdhsa_float_round_mode_32 0
		.amdhsa_float_round_mode_16_64 0
		.amdhsa_float_denorm_mode_32 3
		.amdhsa_float_denorm_mode_16_64 3
		.amdhsa_dx10_clamp 1
		.amdhsa_ieee_mode 1
		.amdhsa_fp16_overflow 0
		.amdhsa_exception_fp_ieee_invalid_op 0
		.amdhsa_exception_fp_denorm_src 0
		.amdhsa_exception_fp_ieee_div_zero 0
		.amdhsa_exception_fp_ieee_overflow 0
		.amdhsa_exception_fp_ieee_underflow 0
		.amdhsa_exception_fp_ieee_inexact 0
		.amdhsa_exception_int_div_zero 0
	.end_amdhsa_kernel
	.text
.Lfunc_end0:
	.size	fft_rtc_back_len1521_factors_13_3_3_13_wgs_117_tpt_117_halfLds_dp_op_CI_CI_sbrr_dirReg, .Lfunc_end0-fft_rtc_back_len1521_factors_13_3_3_13_wgs_117_tpt_117_halfLds_dp_op_CI_CI_sbrr_dirReg
                                        ; -- End function
	.section	.AMDGPU.csdata,"",@progbits
; Kernel info:
; codeLenInByte = 14584
; NumSgprs: 54
; NumVgprs: 171
; ScratchSize: 0
; MemoryBound: 1
; FloatMode: 240
; IeeeMode: 1
; LDSByteSize: 0 bytes/workgroup (compile time only)
; SGPRBlocks: 6
; VGPRBlocks: 42
; NumSGPRsForWavesPerEU: 54
; NumVGPRsForWavesPerEU: 171
; Occupancy: 1
; WaveLimiterHint : 1
; COMPUTE_PGM_RSRC2:SCRATCH_EN: 0
; COMPUTE_PGM_RSRC2:USER_SGPR: 6
; COMPUTE_PGM_RSRC2:TRAP_HANDLER: 0
; COMPUTE_PGM_RSRC2:TGID_X_EN: 1
; COMPUTE_PGM_RSRC2:TGID_Y_EN: 0
; COMPUTE_PGM_RSRC2:TGID_Z_EN: 0
; COMPUTE_PGM_RSRC2:TIDIG_COMP_CNT: 0
	.type	__hip_cuid_513eb22d8b75ac7c,@object ; @__hip_cuid_513eb22d8b75ac7c
	.section	.bss,"aw",@nobits
	.globl	__hip_cuid_513eb22d8b75ac7c
__hip_cuid_513eb22d8b75ac7c:
	.byte	0                               ; 0x0
	.size	__hip_cuid_513eb22d8b75ac7c, 1

	.ident	"AMD clang version 19.0.0git (https://github.com/RadeonOpenCompute/llvm-project roc-6.4.0 25133 c7fe45cf4b819c5991fe208aaa96edf142730f1d)"
	.section	".note.GNU-stack","",@progbits
	.addrsig
	.addrsig_sym __hip_cuid_513eb22d8b75ac7c
	.amdgpu_metadata
---
amdhsa.kernels:
  - .args:
      - .actual_access:  read_only
        .address_space:  global
        .offset:         0
        .size:           8
        .value_kind:     global_buffer
      - .offset:         8
        .size:           8
        .value_kind:     by_value
      - .actual_access:  read_only
        .address_space:  global
        .offset:         16
        .size:           8
        .value_kind:     global_buffer
      - .actual_access:  read_only
        .address_space:  global
        .offset:         24
        .size:           8
        .value_kind:     global_buffer
      - .actual_access:  read_only
        .address_space:  global
        .offset:         32
        .size:           8
        .value_kind:     global_buffer
      - .offset:         40
        .size:           8
        .value_kind:     by_value
      - .actual_access:  read_only
        .address_space:  global
        .offset:         48
        .size:           8
        .value_kind:     global_buffer
      - .actual_access:  read_only
        .address_space:  global
        .offset:         56
        .size:           8
        .value_kind:     global_buffer
      - .offset:         64
        .size:           4
        .value_kind:     by_value
      - .actual_access:  read_only
        .address_space:  global
        .offset:         72
        .size:           8
        .value_kind:     global_buffer
      - .actual_access:  read_only
        .address_space:  global
        .offset:         80
        .size:           8
        .value_kind:     global_buffer
      - .actual_access:  read_only
        .address_space:  global
        .offset:         88
        .size:           8
        .value_kind:     global_buffer
      - .actual_access:  write_only
        .address_space:  global
        .offset:         96
        .size:           8
        .value_kind:     global_buffer
    .group_segment_fixed_size: 0
    .kernarg_segment_align: 8
    .kernarg_segment_size: 104
    .language:       OpenCL C
    .language_version:
      - 2
      - 0
    .max_flat_workgroup_size: 117
    .name:           fft_rtc_back_len1521_factors_13_3_3_13_wgs_117_tpt_117_halfLds_dp_op_CI_CI_sbrr_dirReg
    .private_segment_fixed_size: 0
    .sgpr_count:     54
    .sgpr_spill_count: 0
    .symbol:         fft_rtc_back_len1521_factors_13_3_3_13_wgs_117_tpt_117_halfLds_dp_op_CI_CI_sbrr_dirReg.kd
    .uniform_work_group_size: 1
    .uses_dynamic_stack: false
    .vgpr_count:     171
    .vgpr_spill_count: 0
    .wavefront_size: 64
amdhsa.target:   amdgcn-amd-amdhsa--gfx906
amdhsa.version:
  - 1
  - 2
...

	.end_amdgpu_metadata
